;; amdgpu-corpus repo=ROCm/rocFFT kind=compiled arch=gfx906 opt=O3
	.text
	.amdgcn_target "amdgcn-amd-amdhsa--gfx906"
	.amdhsa_code_object_version 6
	.protected	bluestein_single_fwd_len1625_dim1_sp_op_CI_CI ; -- Begin function bluestein_single_fwd_len1625_dim1_sp_op_CI_CI
	.globl	bluestein_single_fwd_len1625_dim1_sp_op_CI_CI
	.p2align	8
	.type	bluestein_single_fwd_len1625_dim1_sp_op_CI_CI,@function
bluestein_single_fwd_len1625_dim1_sp_op_CI_CI: ; @bluestein_single_fwd_len1625_dim1_sp_op_CI_CI
; %bb.0:
	s_mov_b64 s[26:27], s[2:3]
	s_mov_b64 s[24:25], s[0:1]
	s_load_dwordx4 s[0:3], s[4:5], 0x28
	v_mul_u32_u24_e32 v1, 0x3f1, v0
	v_lshrrev_b32_e32 v6, 16, v1
	v_lshl_add_u32 v186, s6, 1, v6
	v_mov_b32_e32 v187, 0
	s_add_u32 s24, s24, s7
	s_waitcnt lgkmcnt(0)
	v_cmp_gt_u64_e32 vcc, s[0:1], v[186:187]
	s_addc_u32 s25, s25, 0
	s_and_saveexec_b64 s[0:1], vcc
	s_cbranch_execz .LBB0_15
; %bb.1:
	s_load_dwordx4 s[16:19], s[4:5], 0x18
	v_mul_lo_u16_e32 v1, 0x41, v6
	v_sub_u16_e32 v183, v0, v1
	v_lshlrev_b32_e32 v34, 3, v183
	v_and_b32_e32 v6, 1, v6
	s_waitcnt lgkmcnt(0)
	s_load_dwordx4 s[12:15], s[16:17], 0x0
	v_mov_b32_e32 v33, 0x659
	s_waitcnt lgkmcnt(0)
	v_mad_u64_u32 v[0:1], s[0:1], s14, v186, 0
	v_mad_u64_u32 v[2:3], s[0:1], s12, v183, 0
	;; [unrolled: 1-line block ×3, first 2 shown]
	s_load_dwordx2 s[14:15], s[4:5], 0x0
	v_mov_b32_e32 v5, s3
	v_mad_u64_u32 v[7:8], s[0:1], s13, v183, v[3:4]
	v_mov_b32_e32 v1, v4
	v_lshlrev_b64 v[0:1], 3, v[0:1]
	v_mov_b32_e32 v3, v7
	v_add_co_u32_e32 v4, vcc, s2, v0
	v_addc_co_u32_e32 v5, vcc, v5, v1, vcc
	v_lshlrev_b64 v[0:1], 3, v[2:3]
	s_mul_i32 s0, s13, 0x7d
	s_mul_hi_u32 s1, s12, 0x7d
	v_add_co_u32_e32 v0, vcc, v4, v0
	s_waitcnt lgkmcnt(0)
	v_mov_b32_e32 v2, s15
	v_add_co_u32_e64 v160, s[2:3], s14, v34
	s_add_i32 s1, s1, s0
	s_mul_i32 s0, s12, 0x7d
	v_addc_co_u32_e32 v1, vcc, v5, v1, vcc
	v_addc_co_u32_e64 v161, vcc, 0, v2, s[2:3]
	s_lshl_b64 s[16:17], s[0:1], 3
	v_mov_b32_e32 v31, s17
	v_add_co_u32_e32 v2, vcc, s16, v0
	v_addc_co_u32_e32 v3, vcc, v1, v31, vcc
	v_add_co_u32_e32 v4, vcc, s16, v2
	v_addc_co_u32_e32 v5, vcc, v3, v31, vcc
	;; [unrolled: 2-line block ×3, first 2 shown]
	global_load_dwordx2 v[9:10], v[0:1], off
	global_load_dwordx2 v[11:12], v[2:3], off
	;; [unrolled: 1-line block ×4, first 2 shown]
	global_load_dwordx2 v[203:204], v34, s[14:15]
	global_load_dwordx2 v[201:202], v34, s[14:15] offset:1000
	global_load_dwordx2 v[199:200], v34, s[14:15] offset:2000
	;; [unrolled: 1-line block ×3, first 2 shown]
	v_add_co_u32_e32 v0, vcc, s16, v7
	v_addc_co_u32_e32 v1, vcc, v8, v31, vcc
	v_add_co_u32_e32 v2, vcc, s16, v0
	v_addc_co_u32_e32 v3, vcc, v1, v31, vcc
	s_movk_i32 s0, 0x1000
	global_load_dwordx2 v[7:8], v[0:1], off
	global_load_dwordx2 v[181:182], v34, s[14:15] offset:4000
	v_add_co_u32_e32 v0, vcc, s0, v160
	v_addc_co_u32_e32 v1, vcc, 0, v161, vcc
	global_load_dwordx2 v[17:18], v[2:3], off
	v_add_co_u32_e32 v2, vcc, s16, v2
	v_addc_co_u32_e32 v3, vcc, v3, v31, vcc
	global_load_dwordx2 v[19:20], v[2:3], off
	;; [unrolled: 3-line block ×3, first 2 shown]
	v_add_co_u32_e32 v2, vcc, s16, v2
	v_addc_co_u32_e32 v3, vcc, v3, v31, vcc
	global_load_dwordx2 v[179:180], v[0:1], off offset:904
	v_add_co_u32_e32 v4, vcc, s16, v2
	v_addc_co_u32_e32 v5, vcc, v3, v31, vcc
	s_movk_i32 s0, 0x2000
	global_load_dwordx2 v[23:24], v[2:3], off
	global_load_dwordx2 v[187:188], v[0:1], off offset:1904
	global_load_dwordx2 v[177:178], v[0:1], off offset:2904
	global_load_dwordx2 v[175:176], v[0:1], off offset:3904
	v_add_co_u32_e32 v2, vcc, s0, v160
	v_addc_co_u32_e32 v3, vcc, 0, v161, vcc
	global_load_dwordx2 v[25:26], v[4:5], off
	v_add_co_u32_e32 v4, vcc, s16, v4
	global_load_dwordx2 v[173:174], v[2:3], off offset:808
	v_addc_co_u32_e32 v5, vcc, v5, v31, vcc
	global_load_dwordx2 v[27:28], v[4:5], off
	global_load_dwordx2 v[171:172], v[2:3], off offset:1808
	v_add_co_u32_e32 v4, vcc, s16, v4
	v_addc_co_u32_e32 v5, vcc, v5, v31, vcc
	global_load_dwordx2 v[29:30], v[4:5], off
	global_load_dwordx2 v[169:170], v[2:3], off offset:2808
	v_add_co_u32_e32 v4, vcc, s16, v4
	v_addc_co_u32_e32 v5, vcc, v5, v31, vcc
	global_load_dwordx2 v[31:32], v[4:5], off
	global_load_dwordx2 v[167:168], v[2:3], off offset:3808
	v_cmp_eq_u32_e32 vcc, 1, v6
	v_cndmask_b32_e32 v6, 0, v33, vcc
	v_lshlrev_b32_e32 v162, 3, v6
	v_add_u32_e32 v193, v162, v34
	s_load_dwordx2 s[6:7], s[4:5], 0x38
	s_load_dwordx4 s[8:11], s[18:19], 0x0
	v_cmp_gt_u16_e64 s[0:1], 60, v183
	s_waitcnt vmcnt(21)
	v_mul_f32_e32 v33, v10, v204
	v_mul_f32_e32 v6, v9, v204
	v_fmac_f32_e32 v33, v9, v203
	v_fma_f32 v34, v10, v203, -v6
	s_waitcnt vmcnt(20)
	v_mul_f32_e32 v9, v12, v202
	v_mul_f32_e32 v6, v11, v202
	v_fmac_f32_e32 v9, v11, v201
	v_fma_f32 v10, v12, v201, -v6
	s_waitcnt vmcnt(19)
	v_mul_f32_e32 v6, v13, v200
	ds_write2_b64 v193, v[33:34], v[9:10] offset1:125
	v_mul_f32_e32 v9, v14, v200
	v_fma_f32 v10, v14, v199, -v6
	s_waitcnt vmcnt(18)
	v_mul_f32_e32 v11, v16, v185
	v_mul_f32_e32 v6, v15, v185
	v_fmac_f32_e32 v9, v13, v199
	v_fmac_f32_e32 v11, v15, v184
	v_fma_f32 v12, v16, v184, -v6
	v_add_u32_e32 v6, 0x400, v193
	ds_write2_b64 v6, v[9:10], v[11:12] offset0:122 offset1:247
	s_waitcnt vmcnt(16)
	v_mul_f32_e32 v9, v8, v182
	v_fmac_f32_e32 v9, v7, v181
	v_mul_f32_e32 v7, v7, v182
	v_fma_f32 v10, v8, v181, -v7
	s_waitcnt vmcnt(12)
	v_mul_f32_e32 v11, v18, v180
	v_mul_f32_e32 v7, v17, v180
	v_fmac_f32_e32 v11, v17, v179
	v_fma_f32 v12, v18, v179, -v7
	v_add_u32_e32 v7, 0xc00, v193
	s_waitcnt vmcnt(10)
	v_mul_f32_e32 v8, v19, v188
	ds_write2_b64 v7, v[9:10], v[11:12] offset0:116 offset1:241
	v_mul_f32_e32 v9, v20, v188
	v_fma_f32 v10, v20, v187, -v8
	s_waitcnt vmcnt(9)
	v_mul_f32_e32 v11, v22, v178
	v_mul_f32_e32 v8, v21, v178
	v_fmac_f32_e32 v9, v19, v187
	v_fmac_f32_e32 v11, v21, v177
	v_fma_f32 v12, v22, v177, -v8
	v_add_u32_e32 v8, 0x1400, v193
	ds_write2_b64 v8, v[9:10], v[11:12] offset0:110 offset1:235
	s_waitcnt vmcnt(8)
	v_mul_f32_e32 v9, v23, v176
	v_mul_f32_e32 v10, v24, v176
	v_fma_f32 v11, v24, v175, -v9
	s_waitcnt vmcnt(6)
	v_mul_f32_e32 v12, v26, v174
	v_mul_f32_e32 v9, v25, v174
	v_fmac_f32_e32 v10, v23, v175
	v_fmac_f32_e32 v12, v25, v173
	v_fma_f32 v13, v26, v173, -v9
	v_add_u32_e32 v9, 0x1c00, v193
	ds_write2_b64 v9, v[10:11], v[12:13] offset0:104 offset1:229
	s_waitcnt vmcnt(4)
	v_mul_f32_e32 v10, v27, v172
	;; [unrolled: 12-line block ×3, first 2 shown]
	v_mul_f32_e32 v12, v31, v168
	v_fmac_f32_e32 v11, v31, v167
	v_fma_f32 v12, v32, v167, -v12
	ds_write_b64 v193, v[11:12] offset:12000
	s_and_saveexec_b64 s[18:19], s[0:1]
	s_cbranch_execz .LBB0_3
; %bb.2:
	v_mov_b32_e32 v11, 0xffffd328
	v_mad_u64_u32 v[4:5], s[20:21], s12, v11, v[4:5]
	s_mulk_i32 s13, 0xd328
	s_sub_i32 s12, s13, s12
	v_add_u32_e32 v5, s12, v5
	global_load_dwordx2 v[11:12], v[4:5], off
	v_mov_b32_e32 v57, s17
	v_add_co_u32_e32 v4, vcc, s16, v4
	v_addc_co_u32_e32 v5, vcc, v5, v57, vcc
	global_load_dwordx2 v[13:14], v[4:5], off
	v_add_co_u32_e32 v4, vcc, s16, v4
	v_addc_co_u32_e32 v5, vcc, v5, v57, vcc
	global_load_dwordx2 v[15:16], v[4:5], off
	;; [unrolled: 3-line block ×3, first 2 shown]
	global_load_dwordx2 v[19:20], v[160:161], off offset:520
	global_load_dwordx2 v[21:22], v[160:161], off offset:1520
	;; [unrolled: 1-line block ×4, first 2 shown]
	v_add_co_u32_e32 v4, vcc, s16, v4
	v_addc_co_u32_e32 v5, vcc, v5, v57, vcc
	global_load_dwordx2 v[27:28], v[4:5], off
	global_load_dwordx2 v[29:30], v[0:1], off offset:424
	v_add_co_u32_e32 v4, vcc, s16, v4
	v_addc_co_u32_e32 v5, vcc, v5, v57, vcc
	global_load_dwordx2 v[31:32], v[4:5], off
	v_add_co_u32_e32 v4, vcc, s16, v4
	v_addc_co_u32_e32 v5, vcc, v5, v57, vcc
	global_load_dwordx2 v[33:34], v[4:5], off
	;; [unrolled: 3-line block ×3, first 2 shown]
	global_load_dwordx2 v[37:38], v[0:1], off offset:1424
	global_load_dwordx2 v[39:40], v[0:1], off offset:2424
	;; [unrolled: 1-line block ×3, first 2 shown]
	v_add_co_u32_e32 v0, vcc, s16, v4
	v_addc_co_u32_e32 v1, vcc, v5, v57, vcc
	global_load_dwordx2 v[4:5], v[0:1], off
	v_add_co_u32_e32 v0, vcc, s16, v0
	v_addc_co_u32_e32 v1, vcc, v1, v57, vcc
	global_load_dwordx2 v[43:44], v[0:1], off
	global_load_dwordx2 v[45:46], v[2:3], off offset:328
	global_load_dwordx2 v[47:48], v[2:3], off offset:1328
	v_add_co_u32_e32 v0, vcc, s16, v0
	v_addc_co_u32_e32 v1, vcc, v1, v57, vcc
	global_load_dwordx2 v[49:50], v[0:1], off
	v_add_co_u32_e32 v0, vcc, s16, v0
	v_addc_co_u32_e32 v1, vcc, v1, v57, vcc
	global_load_dwordx2 v[51:52], v[0:1], off
	global_load_dwordx2 v[53:54], v[2:3], off offset:2328
	global_load_dwordx2 v[55:56], v[2:3], off offset:3328
	v_add_co_u32_e32 v0, vcc, s16, v0
	v_addc_co_u32_e32 v1, vcc, v1, v57, vcc
	v_add_co_u32_e32 v2, vcc, 0x3000, v160
	v_addc_co_u32_e32 v3, vcc, 0, v161, vcc
	global_load_dwordx2 v[57:58], v[2:3], off offset:232
	global_load_dwordx2 v[59:60], v[0:1], off
	s_waitcnt vmcnt(21)
	v_mul_f32_e32 v0, v12, v20
	v_mul_f32_e32 v1, v11, v20
	s_waitcnt vmcnt(20)
	v_mul_f32_e32 v2, v14, v22
	v_mul_f32_e32 v3, v13, v22
	v_fmac_f32_e32 v0, v11, v19
	v_fma_f32 v1, v12, v19, -v1
	v_fmac_f32_e32 v2, v13, v21
	v_fma_f32 v3, v14, v21, -v3
	ds_write2_b64 v193, v[0:1], v[2:3] offset0:65 offset1:190
	s_waitcnt vmcnt(19)
	v_mul_f32_e32 v0, v16, v24
	v_mul_f32_e32 v1, v15, v24
	s_waitcnt vmcnt(18)
	v_mul_f32_e32 v2, v18, v26
	v_mul_f32_e32 v3, v17, v26
	v_fmac_f32_e32 v0, v15, v23
	v_fma_f32 v1, v16, v23, -v1
	v_fmac_f32_e32 v2, v17, v25
	v_fma_f32 v3, v18, v25, -v3
	v_add_u32_e32 v11, 0x800, v193
	ds_write2_b64 v11, v[0:1], v[2:3] offset0:59 offset1:184
	s_waitcnt vmcnt(16)
	v_mul_f32_e32 v0, v28, v30
	v_mul_f32_e32 v1, v27, v30
	s_waitcnt vmcnt(12)
	v_mul_f32_e32 v2, v32, v38
	v_mul_f32_e32 v3, v31, v38
	v_fmac_f32_e32 v0, v27, v29
	v_fma_f32 v1, v28, v29, -v1
	v_fmac_f32_e32 v2, v31, v37
	v_fma_f32 v3, v32, v37, -v3
	v_add_u32_e32 v11, 0x1000, v193
	;; [unrolled: 12-line block ×5, first 2 shown]
	ds_write2_b64 v4, v[0:1], v[2:3] offset0:35 offset1:160
	s_waitcnt vmcnt(0)
	v_mul_f32_e32 v0, v60, v58
	v_mul_f32_e32 v1, v59, v58
	v_fmac_f32_e32 v0, v59, v57
	v_fma_f32 v1, v60, v57, -v1
	ds_write_b64 v193, v[0:1] offset:12520
.LBB0_3:
	s_or_b64 exec, exec, s[18:19]
	s_waitcnt lgkmcnt(0)
	s_barrier
	ds_read2_b64 v[44:47], v193 offset1:125
	ds_read2_b64 v[36:39], v6 offset0:122 offset1:247
	ds_read2_b64 v[28:31], v7 offset0:116 offset1:241
	ds_read2_b64 v[24:27], v8 offset0:110 offset1:235
	ds_read2_b64 v[32:35], v9 offset0:104 offset1:229
	ds_read2_b64 v[40:43], v10 offset0:98 offset1:223
	ds_read_b64 v[52:53], v193 offset:12000
	s_load_dwordx2 s[4:5], s[4:5], 0x8
	v_mov_b32_e32 v0, 0
	v_mov_b32_e32 v1, 0
                                        ; implicit-def: $vgpr6
                                        ; implicit-def: $vgpr16
                                        ; implicit-def: $vgpr20
                                        ; implicit-def: $vgpr48
                                        ; implicit-def: $vgpr14
                                        ; implicit-def: $vgpr10
	s_and_saveexec_b64 s[12:13], s[0:1]
	s_cbranch_execz .LBB0_5
; %bb.4:
	v_add_u32_e32 v4, 0x800, v193
	ds_read2_b64 v[8:11], v4 offset0:59 offset1:184
	v_add_u32_e32 v4, 0x1000, v193
	ds_read2_b64 v[12:15], v4 offset0:53 offset1:178
	v_add_u32_e32 v4, 0x1800, v193
	v_add_u32_e32 v16, 0x2000, v193
	;; [unrolled: 1-line block ×3, first 2 shown]
	ds_read2_b64 v[0:3], v193 offset0:65 offset1:190
	ds_read2_b64 v[4:7], v4 offset0:47 offset1:172
	;; [unrolled: 1-line block ×4, first 2 shown]
	ds_read_b64 v[48:49], v193 offset:12520
.LBB0_5:
	s_or_b64 exec, exec, s[12:13]
	s_waitcnt lgkmcnt(0)
	v_add_f32_e32 v50, v44, v46
	v_add_f32_e32 v51, v45, v47
	;; [unrolled: 1-line block ×23, first 2 shown]
	v_sub_f32_e32 v46, v46, v52
	v_sub_f32_e32 v47, v47, v53
	v_add_f32_e32 v51, v51, v43
	v_add_f32_e32 v50, v50, v52
	v_mul_f32_e32 v52, 0xbeedf032, v47
	s_mov_b32 s16, 0x3f62ad3f
	v_mul_f32_e32 v56, 0xbeedf032, v46
	v_mul_f32_e32 v58, 0xbf52af12, v47
	s_mov_b32 s17, 0x3f116cb1
	v_mul_f32_e32 v60, 0xbf52af12, v46
	;; [unrolled: 3-line block ×6, first 2 shown]
	v_add_f32_e32 v51, v51, v53
	v_fma_f32 v53, v54, s16, -v52
	v_mov_b32_e32 v57, v56
	v_fmac_f32_e32 v52, 0x3f62ad3f, v54
	v_fma_f32 v59, v54, s17, -v58
	v_mov_b32_e32 v61, v60
	v_fmac_f32_e32 v58, 0x3f116cb1, v54
	;; [unrolled: 3-line block ×6, first 2 shown]
	v_add_f32_e32 v53, v44, v53
	v_fmac_f32_e32 v57, 0x3f62ad3f, v55
	v_add_f32_e32 v52, v44, v52
	v_fma_f32 v56, v55, s16, -v56
	v_add_f32_e32 v59, v44, v59
	v_fmac_f32_e32 v61, 0x3f116cb1, v55
	v_add_f32_e32 v58, v44, v58
	v_fma_f32 v60, v55, s17, -v60
	;; [unrolled: 4-line block ×6, first 2 shown]
	v_add_f32_e32 v47, v43, v37
	v_sub_f32_e32 v37, v37, v43
	v_add_f32_e32 v57, v45, v57
	v_add_f32_e32 v56, v45, v56
	;; [unrolled: 1-line block ×13, first 2 shown]
	v_sub_f32_e32 v36, v36, v42
	v_mul_f32_e32 v42, 0xbf52af12, v37
	v_fma_f32 v43, v46, s17, -v42
	v_add_f32_e32 v43, v43, v53
	v_mul_f32_e32 v53, 0xbf52af12, v36
	v_fmac_f32_e32 v42, 0x3f116cb1, v46
	v_mov_b32_e32 v54, v53
	v_add_f32_e32 v42, v42, v52
	v_fma_f32 v52, v47, s17, -v53
	v_mul_f32_e32 v53, 0xbf6f5d39, v37
	v_fmac_f32_e32 v54, 0x3f116cb1, v47
	v_add_f32_e32 v52, v52, v56
	v_fma_f32 v55, v46, s19, -v53
	v_mul_f32_e32 v56, 0xbf6f5d39, v36
	v_fmac_f32_e32 v53, 0xbeb58ec6, v46
	v_add_f32_e32 v54, v54, v57
	v_mov_b32_e32 v57, v56
	v_add_f32_e32 v53, v53, v58
	v_fma_f32 v56, v47, s19, -v56
	v_mul_f32_e32 v58, 0xbe750f2a, v37
	v_add_f32_e32 v55, v55, v59
	v_fmac_f32_e32 v57, 0xbeb58ec6, v47
	v_add_f32_e32 v56, v56, v60
	v_fma_f32 v59, v46, s21, -v58
	v_mul_f32_e32 v60, 0xbe750f2a, v36
	v_fmac_f32_e32 v58, 0xbf788fa5, v46
	v_add_f32_e32 v57, v57, v61
	v_mov_b32_e32 v61, v60
	v_add_f32_e32 v58, v58, v62
	v_fma_f32 v60, v47, s21, -v60
	v_mul_f32_e32 v62, 0x3f29c268, v37
	v_add_f32_e32 v59, v59, v63
	;; [unrolled: 11-line block ×3, first 2 shown]
	v_add_f32_e32 v64, v64, v68
	v_fma_f32 v67, v46, s18, -v66
	v_mul_f32_e32 v68, 0x3f7e222b, v36
	v_mul_f32_e32 v36, 0x3eedf032, v36
	v_add_f32_e32 v67, v67, v71
	v_fmac_f32_e32 v66, 0x3df6dbef, v46
	v_mul_f32_e32 v37, 0x3eedf032, v37
	v_mov_b32_e32 v71, v36
	v_fma_f32 v36, v47, s16, -v36
	v_add_f32_e32 v66, v66, v70
	v_fma_f32 v70, v46, s16, -v37
	v_fmac_f32_e32 v37, 0x3f62ad3f, v46
	v_add_f32_e32 v36, v36, v45
	v_add_f32_e32 v45, v41, v39
	v_sub_f32_e32 v39, v39, v41
	v_add_f32_e32 v37, v37, v44
	v_add_f32_e32 v44, v40, v38
	v_sub_f32_e32 v38, v38, v40
	v_mul_f32_e32 v40, 0xbf7e222b, v39
	v_fma_f32 v41, v44, s18, -v40
	v_fmac_f32_e32 v65, 0xbf3f9e67, v47
	v_add_f32_e32 v41, v41, v43
	v_mul_f32_e32 v43, 0xbf7e222b, v38
	v_fmac_f32_e32 v40, 0x3df6dbef, v44
	v_add_f32_e32 v65, v65, v69
	v_mov_b32_e32 v69, v68
	v_mov_b32_e32 v46, v43
	v_add_f32_e32 v40, v40, v42
	v_fma_f32 v42, v45, s18, -v43
	v_mul_f32_e32 v43, 0xbe750f2a, v39
	v_fmac_f32_e32 v69, 0x3df6dbef, v47
	v_fma_f32 v68, v47, s18, -v68
	v_fmac_f32_e32 v71, 0x3f62ad3f, v47
	v_fma_f32 v47, v44, s21, -v43
	v_fmac_f32_e32 v43, 0xbf788fa5, v44
	v_fmac_f32_e32 v46, 0x3df6dbef, v45
	v_add_f32_e32 v42, v42, v52
	v_mul_f32_e32 v52, 0xbe750f2a, v38
	v_add_f32_e32 v43, v43, v53
	v_mul_f32_e32 v53, 0x3f6f5d39, v39
	v_add_f32_e32 v46, v46, v54
	v_add_f32_e32 v47, v47, v55
	v_mov_b32_e32 v54, v52
	v_fma_f32 v52, v45, s21, -v52
	v_fma_f32 v55, v44, s19, -v53
	v_fmac_f32_e32 v53, 0xbeb58ec6, v44
	v_fmac_f32_e32 v54, 0xbf788fa5, v45
	v_add_f32_e32 v52, v52, v56
	v_mul_f32_e32 v56, 0x3f6f5d39, v38
	v_add_f32_e32 v53, v53, v58
	v_mul_f32_e32 v58, 0x3eedf032, v39
	v_add_f32_e32 v54, v54, v57
	v_add_f32_e32 v55, v55, v59
	v_mov_b32_e32 v57, v56
	v_fma_f32 v56, v45, s19, -v56
	;; [unrolled: 11-line block ×3, first 2 shown]
	v_fma_f32 v63, v44, s17, -v62
	v_fmac_f32_e32 v62, 0x3f116cb1, v44
	v_mul_f32_e32 v39, 0xbf29c268, v39
	v_add_f32_e32 v60, v60, v64
	v_mul_f32_e32 v64, 0xbf52af12, v38
	v_add_f32_e32 v62, v62, v66
	v_fma_f32 v66, v44, s20, -v39
	v_mul_f32_e32 v38, 0xbf29c268, v38
	v_fmac_f32_e32 v39, 0xbf3f9e67, v44
	v_add_f32_e32 v63, v63, v67
	v_mov_b32_e32 v67, v38
	v_add_f32_e32 v37, v39, v37
	v_fma_f32 v38, v45, s20, -v38
	v_add_f32_e32 v39, v35, v29
	v_sub_f32_e32 v29, v29, v35
	v_add_f32_e32 v36, v38, v36
	v_add_f32_e32 v38, v34, v28
	v_sub_f32_e32 v28, v28, v34
	v_mul_f32_e32 v34, 0xbf6f5d39, v29
	v_fma_f32 v35, v38, s19, -v34
	v_fmac_f32_e32 v61, 0x3f62ad3f, v45
	v_add_f32_e32 v35, v35, v41
	v_mul_f32_e32 v41, 0xbf6f5d39, v28
	v_fmac_f32_e32 v34, 0xbeb58ec6, v38
	v_add_f32_e32 v61, v61, v65
	v_mov_b32_e32 v65, v64
	v_mov_b32_e32 v44, v41
	v_add_f32_e32 v34, v34, v40
	v_fma_f32 v40, v39, s19, -v41
	v_mul_f32_e32 v41, 0x3f29c268, v29
	v_fmac_f32_e32 v65, 0x3f116cb1, v45
	v_fma_f32 v64, v45, s17, -v64
	v_fmac_f32_e32 v67, 0xbf3f9e67, v45
	v_fmac_f32_e32 v44, 0xbeb58ec6, v39
	v_add_f32_e32 v40, v40, v42
	v_fma_f32 v42, v38, s20, -v41
	v_mul_f32_e32 v45, 0x3f29c268, v28
	v_fmac_f32_e32 v41, 0xbf3f9e67, v38
	v_add_f32_e32 v44, v44, v46
	v_mov_b32_e32 v46, v45
	v_add_f32_e32 v41, v41, v43
	v_fma_f32 v43, v39, s20, -v45
	v_mul_f32_e32 v45, 0x3eedf032, v29
	v_add_f32_e32 v42, v42, v47
	v_fma_f32 v47, v38, s16, -v45
	v_fmac_f32_e32 v45, 0x3f62ad3f, v38
	v_fmac_f32_e32 v46, 0xbf3f9e67, v39
	v_add_f32_e32 v43, v43, v52
	v_mul_f32_e32 v52, 0x3eedf032, v28
	v_add_f32_e32 v45, v45, v53
	v_mul_f32_e32 v53, 0xbf7e222b, v29
	v_add_f32_e32 v46, v46, v54
	v_add_f32_e32 v47, v47, v55
	v_mov_b32_e32 v54, v52
	v_fma_f32 v52, v39, s16, -v52
	v_fma_f32 v55, v38, s18, -v53
	v_fmac_f32_e32 v53, 0x3df6dbef, v38
	v_fmac_f32_e32 v54, 0x3f62ad3f, v39
	v_add_f32_e32 v52, v52, v56
	v_mul_f32_e32 v56, 0xbf7e222b, v28
	v_add_f32_e32 v53, v53, v58
	v_mul_f32_e32 v58, 0x3e750f2a, v29
	v_add_f32_e32 v54, v54, v57
	v_add_f32_e32 v55, v55, v59
	v_mov_b32_e32 v57, v56
	v_fma_f32 v56, v39, s18, -v56
	v_fma_f32 v59, v38, s21, -v58
	v_fmac_f32_e32 v58, 0xbf788fa5, v38
	v_mul_f32_e32 v29, 0x3f52af12, v29
	v_add_f32_e32 v56, v56, v60
	v_mul_f32_e32 v60, 0x3e750f2a, v28
	v_add_f32_e32 v58, v58, v62
	v_fma_f32 v62, v38, s17, -v29
	v_mul_f32_e32 v28, 0x3f52af12, v28
	v_fmac_f32_e32 v29, 0x3f116cb1, v38
	v_add_f32_e32 v59, v59, v63
	v_mov_b32_e32 v63, v28
	v_add_f32_e32 v29, v29, v37
	v_fma_f32 v28, v39, s17, -v28
	v_add_f32_e32 v37, v33, v31
	v_sub_f32_e32 v31, v31, v33
	v_add_f32_e32 v28, v28, v36
	v_add_f32_e32 v36, v32, v30
	v_sub_f32_e32 v30, v30, v32
	v_mul_f32_e32 v32, 0xbf29c268, v31
	v_fma_f32 v33, v36, s20, -v32
	v_fmac_f32_e32 v57, 0x3df6dbef, v39
	v_add_f32_e32 v33, v33, v35
	v_mul_f32_e32 v35, 0xbf29c268, v30
	v_fmac_f32_e32 v32, 0xbf3f9e67, v36
	v_add_f32_e32 v57, v57, v61
	v_mov_b32_e32 v61, v60
	v_mov_b32_e32 v38, v35
	v_add_f32_e32 v32, v32, v34
	v_fma_f32 v34, v37, s20, -v35
	v_mul_f32_e32 v35, 0x3f7e222b, v31
	v_fmac_f32_e32 v61, 0xbf788fa5, v39
	v_fma_f32 v60, v39, s21, -v60
	v_fmac_f32_e32 v63, 0x3f116cb1, v39
	v_add_f32_e32 v34, v34, v40
	v_fma_f32 v39, v36, s18, -v35
	v_mul_f32_e32 v40, 0x3f7e222b, v30
	v_fmac_f32_e32 v35, 0x3df6dbef, v36
	v_add_f32_e32 v39, v39, v42
	v_mov_b32_e32 v42, v40
	v_add_f32_e32 v35, v35, v41
	v_fma_f32 v40, v37, s18, -v40
	v_mul_f32_e32 v41, 0xbf52af12, v31
	v_fmac_f32_e32 v38, 0xbf3f9e67, v37
	v_add_f32_e32 v40, v40, v43
	v_fma_f32 v43, v36, s17, -v41
	v_fmac_f32_e32 v41, 0x3f116cb1, v36
	v_add_f32_e32 v38, v38, v44
	v_fmac_f32_e32 v42, 0x3df6dbef, v37
	v_mul_f32_e32 v44, 0xbf52af12, v30
	v_add_f32_e32 v41, v41, v45
	v_mul_f32_e32 v45, 0x3e750f2a, v31
	v_add_f32_e32 v42, v42, v46
	v_add_f32_e32 v43, v43, v47
	v_mov_b32_e32 v46, v44
	v_fma_f32 v44, v37, s17, -v44
	v_fma_f32 v47, v36, s21, -v45
	v_fmac_f32_e32 v45, 0xbf788fa5, v36
	v_fmac_f32_e32 v46, 0x3f116cb1, v37
	v_add_f32_e32 v44, v44, v52
	v_mul_f32_e32 v52, 0x3e750f2a, v30
	v_add_f32_e32 v45, v45, v53
	v_mul_f32_e32 v53, 0x3eedf032, v31
	v_add_f32_e32 v46, v46, v54
	v_add_f32_e32 v47, v47, v55
	v_mov_b32_e32 v54, v52
	v_fma_f32 v52, v37, s21, -v52
	v_fma_f32 v55, v36, s16, -v53
	v_fmac_f32_e32 v53, 0x3f62ad3f, v36
	v_mul_f32_e32 v31, 0xbf6f5d39, v31
	v_add_f32_e32 v52, v52, v56
	v_mul_f32_e32 v56, 0x3eedf032, v30
	v_add_f32_e32 v53, v53, v58
	v_fma_f32 v58, v36, s19, -v31
	v_mul_f32_e32 v30, 0xbf6f5d39, v30
	v_fmac_f32_e32 v31, 0xbeb58ec6, v36
	v_add_f32_e32 v55, v55, v59
	v_mov_b32_e32 v59, v30
	v_add_f32_e32 v29, v31, v29
	v_fma_f32 v30, v37, s19, -v30
	v_add_f32_e32 v31, v27, v25
	v_sub_f32_e32 v25, v25, v27
	v_add_f32_e32 v68, v68, v72
	v_add_f32_e32 v28, v30, v28
	;; [unrolled: 1-line block ×3, first 2 shown]
	v_sub_f32_e32 v24, v24, v26
	v_mul_f32_e32 v26, 0xbe750f2a, v25
	v_add_f32_e32 v70, v70, v74
	v_add_f32_e32 v64, v64, v68
	v_fma_f32 v27, v30, s21, -v26
	v_add_f32_e32 v71, v71, v75
	v_add_f32_e32 v66, v66, v70
	;; [unrolled: 1-line block ×4, first 2 shown]
	v_mul_f32_e32 v27, 0xbe750f2a, v24
	v_fmac_f32_e32 v26, 0xbf788fa5, v30
	v_add_f32_e32 v67, v67, v71
	v_add_f32_e32 v62, v62, v66
	;; [unrolled: 1-line block ×3, first 2 shown]
	v_fma_f32 v26, v31, s21, -v27
	v_add_f32_e32 v63, v63, v67
	v_add_f32_e32 v67, v26, v34
	v_mul_f32_e32 v26, 0x3eedf032, v25
	v_mov_b32_e32 v33, v27
	v_fma_f32 v27, v30, s16, -v26
	v_add_f32_e32 v68, v27, v39
	v_mul_f32_e32 v27, 0x3eedf032, v24
	v_fmac_f32_e32 v26, 0x3f62ad3f, v30
	v_add_f32_e32 v70, v26, v35
	v_fma_f32 v26, v31, s16, -v27
	v_add_f32_e32 v71, v26, v40
	v_mul_f32_e32 v26, 0xbf29c268, v25
	v_mov_b32_e32 v32, v27
	v_fma_f32 v27, v30, s20, -v26
	v_add_f32_e32 v72, v27, v43
	v_mul_f32_e32 v27, 0xbf29c268, v24
	v_fmac_f32_e32 v26, 0xbf3f9e67, v30
	v_add_f32_e32 v74, v26, v41
	v_fma_f32 v26, v31, s20, -v27
	v_add_f32_e32 v69, v69, v73
	v_fmac_f32_e32 v32, 0x3f62ad3f, v31
	v_add_f32_e32 v75, v26, v44
	v_mul_f32_e32 v26, 0x3f52af12, v25
	v_add_f32_e32 v65, v65, v69
	v_add_f32_e32 v69, v32, v42
	v_mov_b32_e32 v32, v27
	v_fma_f32 v27, v30, s17, -v26
	v_add_f32_e32 v76, v27, v47
	v_mul_f32_e32 v27, 0x3f52af12, v24
	v_fmac_f32_e32 v26, 0x3f116cb1, v30
	v_add_f32_e32 v78, v26, v45
	v_fma_f32 v26, v31, s17, -v27
	v_fmac_f32_e32 v32, 0xbf3f9e67, v31
	v_add_f32_e32 v79, v26, v52
	v_mul_f32_e32 v26, 0xbf6f5d39, v25
	v_fmac_f32_e32 v54, 0xbf788fa5, v37
	v_add_f32_e32 v73, v32, v46
	v_mov_b32_e32 v32, v27
	v_fma_f32 v27, v30, s19, -v26
	v_add_f32_e32 v54, v54, v57
	v_mov_b32_e32 v57, v56
	v_fma_f32 v56, v37, s16, -v56
	v_add_f32_e32 v80, v27, v55
	v_mul_f32_e32 v27, 0xbf6f5d39, v24
	v_fmac_f32_e32 v26, 0xbeb58ec6, v30
	v_add_f32_e32 v56, v56, v60
	v_add_f32_e32 v82, v26, v53
	v_fma_f32 v26, v31, s19, -v27
	v_mul_f32_e32 v25, 0x3f7e222b, v25
	v_add_f32_e32 v58, v58, v62
	v_add_f32_e32 v83, v26, v56
	v_fma_f32 v26, v30, s18, -v25
	v_mul_f32_e32 v24, 0x3f7e222b, v24
	v_sub_f32_e32 v45, v3, v49
	v_fmac_f32_e32 v59, 0xbeb58ec6, v37
	v_add_f32_e32 v84, v26, v58
	v_mov_b32_e32 v26, v24
	v_fmac_f32_e32 v25, 0x3df6dbef, v30
	v_fma_f32 v24, v31, s18, -v24
	v_mul_f32_e32 v36, 0xbeedf032, v45
	v_add_f32_e32 v59, v59, v63
	v_fmac_f32_e32 v32, 0x3f116cb1, v31
	v_fmac_f32_e32 v26, 0x3df6dbef, v31
	v_add_f32_e32 v86, v25, v29
	v_add_f32_e32 v87, v24, v28
	;; [unrolled: 1-line block ×3, first 2 shown]
	v_sub_f32_e32 v55, v2, v48
	v_mov_b32_e32 v25, v36
	v_add_f32_e32 v61, v61, v65
	v_fmac_f32_e32 v57, 0x3f62ad3f, v37
	v_add_f32_e32 v77, v32, v54
	v_mov_b32_e32 v32, v27
	v_add_f32_e32 v85, v26, v59
	v_add_f32_e32 v26, v49, v3
	v_mul_f32_e32 v40, 0xbeedf032, v55
	v_fmac_f32_e32 v25, 0x3f62ad3f, v24
	v_sub_f32_e32 v47, v9, v23
	v_add_f32_e32 v57, v57, v61
	v_fmac_f32_e32 v32, 0xbeb58ec6, v31
	v_add_f32_e32 v27, v25, v0
	v_fma_f32 v25, v26, s16, -v40
	v_mul_f32_e32 v37, 0xbf52af12, v47
	v_add_f32_e32 v81, v32, v57
	v_add_f32_e32 v29, v25, v1
	;; [unrolled: 1-line block ×3, first 2 shown]
	v_sub_f32_e32 v57, v8, v22
	v_mov_b32_e32 v30, v37
	v_fmac_f32_e32 v33, 0xbf788fa5, v31
	v_add_f32_e32 v28, v23, v9
	v_mul_f32_e32 v42, 0xbf52af12, v57
	v_fmac_f32_e32 v30, 0x3f116cb1, v25
	v_sub_f32_e32 v54, v11, v21
	v_add_f32_e32 v65, v33, v38
	v_add_f32_e32 v31, v30, v27
	v_fma_f32 v27, v28, s17, -v42
	v_mul_f32_e32 v38, 0xbf7e222b, v54
	v_add_f32_e32 v29, v27, v29
	v_add_f32_e32 v27, v20, v10
	v_sub_f32_e32 v60, v10, v20
	v_mov_b32_e32 v32, v38
	v_add_f32_e32 v30, v21, v11
	v_mul_f32_e32 v44, 0xbf7e222b, v60
	v_fmac_f32_e32 v32, 0x3df6dbef, v27
	v_sub_f32_e32 v56, v13, v19
	v_add_f32_e32 v31, v32, v31
	v_fma_f32 v32, v30, s18, -v44
	v_mul_f32_e32 v39, 0xbf6f5d39, v56
	v_add_f32_e32 v32, v32, v29
	v_add_f32_e32 v29, v18, v12
	v_sub_f32_e32 v62, v12, v18
	v_mov_b32_e32 v34, v39
	v_add_f32_e32 v33, v19, v13
	v_mul_f32_e32 v46, 0xbf6f5d39, v62
	v_fmac_f32_e32 v34, 0xbeb58ec6, v29
	v_sub_f32_e32 v58, v15, v17
	;; [unrolled: 11-line block ×3, first 2 shown]
	v_add_f32_e32 v89, v43, v35
	v_fma_f32 v35, v34, s20, -v52
	v_mul_f32_e32 v43, 0xbe750f2a, v59
	v_add_f32_e32 v90, v35, v32
	v_add_f32_e32 v32, v6, v4
	v_sub_f32_e32 v61, v4, v6
	v_mov_b32_e32 v91, v43
	v_add_f32_e32 v35, v7, v5
	v_mul_f32_e32 v53, 0xbe750f2a, v61
	v_fmac_f32_e32 v91, 0xbf788fa5, v32
	s_movk_i32 s14, 0x41
	v_add_f32_e32 v164, v91, v89
	v_fma_f32 v89, v35, s21, -v53
	v_add_co_u32_e32 v88, vcc, s14, v183
	v_add_f32_e32 v165, v89, v90
	v_mul_lo_u16_e32 v89, 13, v183
	v_lshl_add_u32 v198, v89, 3, v162
	v_mul_u32_u24_e32 v163, 13, v88
	s_barrier
	ds_write2_b64 v198, v[50:51], v[64:65] offset1:1
	ds_write2_b64 v198, v[68:69], v[72:73] offset0:2 offset1:3
	ds_write2_b64 v198, v[76:77], v[80:81] offset0:4 offset1:5
	ds_write2_b64 v198, v[84:85], v[86:87] offset0:6 offset1:7
	ds_write2_b64 v198, v[82:83], v[78:79] offset0:8 offset1:9
	ds_write2_b64 v198, v[74:75], v[70:71] offset0:10 offset1:11
	ds_write_b64 v198, v[66:67] offset:96
	s_and_saveexec_b64 s[12:13], s[0:1]
	s_cbranch_execz .LBB0_7
; %bb.6:
	v_mul_f32_e32 v70, 0xbe750f2a, v55
	v_mov_b32_e32 v50, v70
	v_mul_f32_e32 v71, 0x3eedf032, v57
	v_fmac_f32_e32 v50, 0xbf788fa5, v26
	v_mov_b32_e32 v51, v71
	v_add_f32_e32 v50, v50, v1
	v_fmac_f32_e32 v51, 0x3f62ad3f, v28
	v_mul_f32_e32 v72, 0xbf29c268, v60
	v_add_f32_e32 v50, v51, v50
	v_mov_b32_e32 v51, v72
	v_fmac_f32_e32 v51, 0xbf3f9e67, v30
	v_mul_f32_e32 v73, 0x3f52af12, v62
	v_add_f32_e32 v50, v51, v50
	v_mov_b32_e32 v51, v73
	v_fmac_f32_e32 v51, 0x3f116cb1, v33
	v_mul_f32_e32 v74, 0xbf6f5d39, v63
	v_add_f32_e32 v50, v51, v50
	v_mov_b32_e32 v51, v74
	v_fmac_f32_e32 v51, 0xbeb58ec6, v34
	v_mul_f32_e32 v75, 0x3f7e222b, v61
	v_add_f32_e32 v50, v51, v50
	v_mov_b32_e32 v51, v75
	v_fmac_f32_e32 v51, 0x3df6dbef, v35
	v_mul_f32_e32 v76, 0xbe750f2a, v45
	v_add_f32_e32 v51, v51, v50
	v_fma_f32 v50, v24, s21, -v76
	v_mul_f32_e32 v77, 0x3eedf032, v47
	v_add_f32_e32 v50, v50, v0
	v_fma_f32 v64, v25, s16, -v77
	v_mul_f32_e32 v78, 0xbf29c268, v54
	v_add_f32_e32 v50, v64, v50
	v_fma_f32 v64, v27, s20, -v78
	v_mul_f32_e32 v79, 0x3f52af12, v56
	v_add_f32_e32 v50, v64, v50
	v_fma_f32 v64, v29, s17, -v79
	v_mul_f32_e32 v80, 0xbf6f5d39, v58
	v_add_f32_e32 v50, v64, v50
	v_fma_f32 v64, v31, s19, -v80
	v_mul_f32_e32 v81, 0x3f7e222b, v59
	v_add_f32_e32 v50, v64, v50
	v_fma_f32 v64, v32, s18, -v81
	v_mul_f32_e32 v82, 0xbf29c268, v55
	v_add_f32_e32 v50, v64, v50
	v_mov_b32_e32 v64, v82
	v_mul_f32_e32 v83, 0x3f7e222b, v57
	v_fmac_f32_e32 v64, 0xbf3f9e67, v26
	v_mov_b32_e32 v65, v83
	v_add_f32_e32 v64, v64, v1
	v_fmac_f32_e32 v65, 0x3df6dbef, v28
	v_mul_f32_e32 v84, 0xbf52af12, v60
	v_add_f32_e32 v64, v65, v64
	v_mov_b32_e32 v65, v84
	v_fmac_f32_e32 v65, 0x3f116cb1, v30
	v_mul_f32_e32 v85, 0x3e750f2a, v62
	v_add_f32_e32 v64, v65, v64
	v_mov_b32_e32 v65, v85
	v_fmac_f32_e32 v65, 0xbf788fa5, v33
	v_mul_f32_e32 v86, 0x3eedf032, v63
	v_add_f32_e32 v64, v65, v64
	v_mov_b32_e32 v65, v86
	v_fmac_f32_e32 v65, 0x3f62ad3f, v34
	v_mul_f32_e32 v87, 0xbf6f5d39, v61
	v_add_f32_e32 v64, v65, v64
	v_mov_b32_e32 v65, v87
	v_fmac_f32_e32 v65, 0xbeb58ec6, v35
	v_mul_f32_e32 v89, 0xbf29c268, v45
	v_add_f32_e32 v65, v65, v64
	v_fma_f32 v64, v24, s20, -v89
	v_mul_f32_e32 v90, 0x3f7e222b, v47
	v_add_f32_e32 v64, v64, v0
	v_fma_f32 v66, v25, s18, -v90
	v_mul_f32_e32 v91, 0xbf52af12, v54
	v_add_f32_e32 v64, v66, v64
	v_fma_f32 v66, v27, s17, -v91
	v_mul_f32_e32 v92, 0x3e750f2a, v56
	v_add_f32_e32 v64, v66, v64
	v_fma_f32 v66, v29, s21, -v92
	v_mul_f32_e32 v93, 0x3eedf032, v58
	v_add_f32_e32 v64, v66, v64
	v_fma_f32 v66, v31, s16, -v93
	v_mul_f32_e32 v94, 0xbf6f5d39, v59
	v_add_f32_e32 v64, v66, v64
	v_fma_f32 v66, v32, s19, -v94
	v_mul_f32_e32 v95, 0xbf6f5d39, v55
	v_add_f32_e32 v64, v66, v64
	;; [unrolled: 42-line block ×3, first 2 shown]
	v_mov_b32_e32 v68, v107
	v_mul_f32_e32 v108, 0xbe750f2a, v57
	v_fmac_f32_e32 v68, 0x3df6dbef, v26
	v_mov_b32_e32 v69, v108
	v_add_f32_e32 v68, v68, v1
	v_fmac_f32_e32 v69, 0xbf788fa5, v28
	v_mul_f32_e32 v109, 0x3f6f5d39, v60
	v_add_f32_e32 v68, v69, v68
	v_mov_b32_e32 v69, v109
	v_fmac_f32_e32 v69, 0xbeb58ec6, v30
	v_mul_f32_e32 v110, 0x3eedf032, v62
	v_add_f32_e32 v68, v69, v68
	v_mov_b32_e32 v69, v110
	;; [unrolled: 4-line block ×3, first 2 shown]
	v_fmac_f32_e32 v69, 0x3f116cb1, v34
	v_mul_f32_e32 v112, 0xbf7e222b, v45
	v_add_f32_e32 v68, v69, v68
	v_fma_f32 v69, v24, s18, -v112
	v_mul_f32_e32 v113, 0xbe750f2a, v47
	v_add_f32_e32 v69, v69, v0
	v_fma_f32 v114, v25, s21, -v113
	v_add_f32_e32 v69, v114, v69
	v_mul_f32_e32 v114, 0x3f6f5d39, v54
	v_fma_f32 v115, v27, s19, -v114
	v_add_f32_e32 v69, v115, v69
	v_mul_f32_e32 v115, 0x3eedf032, v56
	;; [unrolled: 3-line block ×3, first 2 shown]
	v_fma_f32 v117, v31, s17, -v116
	v_mul_f32_e32 v118, 0xbf29c268, v61
	v_add_f32_e32 v117, v117, v69
	v_mov_b32_e32 v69, v118
	v_fmac_f32_e32 v69, 0xbf3f9e67, v35
	v_mul_f32_e32 v119, 0xbf29c268, v59
	v_add_f32_e32 v69, v69, v68
	v_fma_f32 v68, v32, s20, -v119
	v_add_f32_e32 v68, v68, v117
	v_mul_f32_e32 v117, 0xbf52af12, v55
	v_mov_b32_e32 v55, v117
	v_mul_f32_e32 v57, 0xbf6f5d39, v57
	v_fmac_f32_e32 v55, 0x3f116cb1, v26
	v_mov_b32_e32 v120, v57
	v_add_f32_e32 v55, v55, v1
	v_fmac_f32_e32 v120, 0xbeb58ec6, v28
	v_mul_f32_e32 v60, 0xbe750f2a, v60
	v_add_f32_e32 v55, v120, v55
	v_mov_b32_e32 v120, v60
	v_fmac_f32_e32 v120, 0xbf788fa5, v30
	v_mul_f32_e32 v62, 0x3f29c268, v62
	v_add_f32_e32 v55, v120, v55
	v_mov_b32_e32 v120, v62
	;; [unrolled: 4-line block ×3, first 2 shown]
	v_fmac_f32_e32 v120, 0x3df6dbef, v34
	v_mul_f32_e32 v45, 0xbf52af12, v45
	v_add_f32_e32 v55, v120, v55
	v_fma_f32 v120, v24, s17, -v45
	v_mul_f32_e32 v47, 0xbf6f5d39, v47
	v_add_f32_e32 v120, v120, v0
	v_fma_f32 v121, v25, s19, -v47
	v_add_f32_e32 v120, v121, v120
	v_mul_f32_e32 v121, 0xbe750f2a, v54
	v_fma_f32 v54, v27, s21, -v121
	v_mul_f32_e32 v56, 0x3f29c268, v56
	v_add_f32_e32 v54, v54, v120
	v_fma_f32 v120, v29, s20, -v56
	v_mul_f32_e32 v58, 0x3f7e222b, v58
	v_add_f32_e32 v54, v120, v54
	;; [unrolled: 3-line block ×3, first 2 shown]
	v_mov_b32_e32 v120, v61
	v_fmac_f32_e32 v120, 0x3f62ad3f, v35
	v_mul_f32_e32 v59, 0x3eedf032, v59
	v_add_f32_e32 v2, v2, v0
	v_add_f32_e32 v55, v120, v55
	v_fma_f32 v120, v32, s16, -v59
	v_add_f32_e32 v3, v3, v1
	v_add_f32_e32 v2, v8, v2
	;; [unrolled: 1-line block ×3, first 2 shown]
	v_mul_f32_e32 v120, 0x3f62ad3f, v26
	v_add_f32_e32 v3, v9, v3
	v_add_f32_e32 v2, v10, v2
	;; [unrolled: 1-line block ×3, first 2 shown]
	v_mul_f32_e32 v120, 0x3f116cb1, v28
	v_add_f32_e32 v3, v11, v3
	v_add_f32_e32 v2, v12, v2
	;; [unrolled: 1-line block ×7, first 2 shown]
	v_mul_f32_e32 v42, 0x3df6dbef, v30
	v_add_f32_e32 v3, v15, v3
	v_add_f32_e32 v2, v4, v2
	;; [unrolled: 1-line block ×3, first 2 shown]
	v_mul_f32_e32 v44, 0x3f62ad3f, v24
	v_add_f32_e32 v3, v5, v3
	v_add_f32_e32 v2, v6, v2
	v_fma_f32 v4, v26, s21, -v70
	v_fma_f32 v6, v26, s20, -v82
	;; [unrolled: 1-line block ×4, first 2 shown]
	v_sub_f32_e32 v36, v44, v36
	v_mul_f32_e32 v44, 0x3f116cb1, v25
	v_add_f32_e32 v3, v7, v3
	v_add_f32_e32 v4, v4, v1
	v_fma_f32 v5, v28, s16, -v71
	v_add_f32_e32 v6, v6, v1
	v_fma_f32 v7, v28, s18, -v83
	;; [unrolled: 2-line block ×4, first 2 shown]
	v_sub_f32_e32 v37, v44, v37
	v_add_f32_e32 v36, v36, v0
	v_add_f32_e32 v4, v5, v4
	v_fma_f32 v5, v30, s20, -v72
	v_add_f32_e32 v6, v7, v6
	v_fma_f32 v7, v30, s17, -v84
	;; [unrolled: 2-line block ×4, first 2 shown]
	v_add_f32_e32 v36, v37, v36
	v_mul_f32_e32 v37, 0x3df6dbef, v27
	v_add_f32_e32 v4, v5, v4
	v_fma_f32 v5, v33, s17, -v73
	v_add_f32_e32 v6, v7, v6
	v_fma_f32 v7, v33, s21, -v85
	;; [unrolled: 2-line block ×4, first 2 shown]
	v_add_f32_e32 v40, v42, v40
	v_mul_f32_e32 v42, 0xbeb58ec6, v33
	v_sub_f32_e32 v37, v37, v38
	v_add_f32_e32 v4, v5, v4
	v_fma_f32 v5, v34, s19, -v74
	v_add_f32_e32 v6, v7, v6
	v_fma_f32 v7, v34, s16, -v86
	;; [unrolled: 2-line block ×4, first 2 shown]
	v_fma_f32 v12, v26, s17, -v117
	v_add_f32_e32 v42, v46, v42
	v_add_f32_e32 v36, v37, v36
	v_mul_f32_e32 v37, 0xbeb58ec6, v29
	v_add_f32_e32 v4, v5, v4
	v_fma_f32 v5, v35, s18, -v75
	v_fmac_f32_e32 v76, 0xbf788fa5, v24
	v_add_f32_e32 v6, v7, v6
	v_fma_f32 v7, v35, s19, -v87
	v_fmac_f32_e32 v89, 0xbf3f9e67, v24
	;; [unrolled: 3-line block ×5, first 2 shown]
	v_add_f32_e32 v40, v42, v40
	v_mul_f32_e32 v42, 0xbf3f9e67, v34
	v_sub_f32_e32 v37, v37, v39
	v_add_f32_e32 v3, v17, v3
	v_add_f32_e32 v2, v16, v2
	;; [unrolled: 1-line block ×4, first 2 shown]
	v_fmac_f32_e32 v77, 0x3f62ad3f, v25
	v_add_f32_e32 v7, v7, v6
	v_add_f32_e32 v6, v89, v0
	v_fmac_f32_e32 v90, 0x3df6dbef, v25
	v_add_f32_e32 v9, v9, v8
	v_add_f32_e32 v8, v101, v0
	;; [unrolled: 3-line block ×3, first 2 shown]
	v_fmac_f32_e32 v113, 0xbf788fa5, v25
	v_add_f32_e32 v1, v12, v1
	v_fma_f32 v12, v30, s21, -v60
	v_add_f32_e32 v0, v45, v0
	v_fmac_f32_e32 v47, 0xbeb58ec6, v25
	v_add_f32_e32 v42, v52, v42
	v_add_f32_e32 v36, v37, v36
	v_mul_f32_e32 v37, 0xbf3f9e67, v31
	v_add_f32_e32 v3, v19, v3
	v_add_f32_e32 v2, v18, v2
	;; [unrolled: 1-line block ×3, first 2 shown]
	v_fmac_f32_e32 v78, 0xbf3f9e67, v27
	v_add_f32_e32 v6, v90, v6
	v_fmac_f32_e32 v91, 0x3f116cb1, v27
	v_add_f32_e32 v8, v102, v8
	;; [unrolled: 2-line block ×4, first 2 shown]
	v_fma_f32 v12, v33, s20, -v62
	v_add_f32_e32 v0, v47, v0
	v_fmac_f32_e32 v121, 0xbf788fa5, v27
	v_add_f32_e32 v40, v42, v40
	v_mul_f32_e32 v42, 0xbf788fa5, v35
	v_sub_f32_e32 v37, v37, v41
	v_mul_f32_e32 v38, 0xbf788fa5, v32
	v_add_f32_e32 v3, v21, v3
	v_add_f32_e32 v2, v20, v2
	;; [unrolled: 1-line block ×3, first 2 shown]
	v_fmac_f32_e32 v79, 0x3f116cb1, v29
	v_add_f32_e32 v6, v91, v6
	v_fmac_f32_e32 v92, 0xbf788fa5, v29
	v_add_f32_e32 v8, v103, v8
	;; [unrolled: 2-line block ×4, first 2 shown]
	v_fma_f32 v12, v34, s18, -v63
	v_add_f32_e32 v0, v121, v0
	v_fmac_f32_e32 v56, 0xbf3f9e67, v29
	v_add_f32_e32 v42, v53, v42
	v_add_f32_e32 v36, v37, v36
	v_sub_f32_e32 v38, v38, v43
	v_add_f32_e32 v3, v23, v3
	v_add_f32_e32 v2, v22, v2
	;; [unrolled: 1-line block ×3, first 2 shown]
	v_fmac_f32_e32 v80, 0xbeb58ec6, v31
	v_add_f32_e32 v6, v92, v6
	v_fmac_f32_e32 v93, 0x3f62ad3f, v31
	v_add_f32_e32 v8, v104, v8
	;; [unrolled: 2-line block ×4, first 2 shown]
	v_fma_f32 v12, v35, s16, -v61
	v_add_f32_e32 v0, v56, v0
	v_fmac_f32_e32 v58, 0x3df6dbef, v31
	v_add_f32_e32 v37, v42, v40
	v_add_f32_e32 v36, v38, v36
	;; [unrolled: 1-line block ×5, first 2 shown]
	v_fmac_f32_e32 v81, 0x3df6dbef, v32
	v_add_f32_e32 v6, v93, v6
	v_fmac_f32_e32 v94, 0xbeb58ec6, v32
	v_add_f32_e32 v8, v105, v8
	;; [unrolled: 2-line block ×4, first 2 shown]
	v_add_f32_e32 v0, v58, v0
	v_fmac_f32_e32 v59, 0x3f62ad3f, v32
	v_lshl_add_u32 v12, v163, 3, v162
	v_add_f32_e32 v4, v81, v4
	v_add_f32_e32 v6, v94, v6
	;; [unrolled: 1-line block ×5, first 2 shown]
	ds_write2_b64 v12, v[2:3], v[36:37] offset1:1
	ds_write2_b64 v12, v[54:55], v[68:69] offset0:2 offset1:3
	ds_write2_b64 v12, v[66:67], v[64:65] offset0:4 offset1:5
	ds_write2_b64 v12, v[50:51], v[4:5] offset0:6 offset1:7
	ds_write2_b64 v12, v[6:7], v[8:9] offset0:8 offset1:9
	ds_write2_b64 v12, v[10:11], v[0:1] offset0:10 offset1:11
	ds_write_b64 v12, v[164:165] offset:96
.LBB0_7:
	s_or_b64 exec, exec, s[12:13]
	s_movk_i32 s12, 0x4f
	v_mul_lo_u16_sdwa v0, v183, s12 dst_sel:DWORD dst_unused:UNUSED_PAD src0_sel:BYTE_0 src1_sel:DWORD
	v_lshrrev_b16_e32 v52, 10, v0
	v_mul_lo_u16_e32 v0, 13, v52
	v_sub_u16_e32 v53, v183, v0
	v_mov_b32_e32 v16, 5
	v_lshlrev_b32_sdwa v8, v16, v53 dst_sel:DWORD dst_unused:UNUSED_PAD src0_sel:DWORD src1_sel:BYTE_0
	s_waitcnt lgkmcnt(0)
	s_barrier
	global_load_dwordx4 v[4:7], v8, s[4:5]
	global_load_dwordx4 v[248:251], v8, s[4:5] offset:16
	v_mul_lo_u16_sdwa v8, v88, s12 dst_sel:DWORD dst_unused:UNUSED_PAD src0_sel:BYTE_0 src1_sel:DWORD
	v_lshrrev_b16_e32 v54, 10, v8
	v_mul_lo_u16_e32 v8, 13, v54
	v_sub_u16_e32 v55, v88, v8
	s_movk_i32 s13, 0x82
	v_lshlrev_b32_sdwa v17, v16, v55 dst_sel:DWORD dst_unused:UNUSED_PAD src0_sel:DWORD src1_sel:BYTE_0
	v_add_co_u32_e32 v89, vcc, s13, v183
	global_load_dwordx4 v[12:15], v17, s[4:5]
	global_load_dwordx4 v[8:11], v17, s[4:5] offset:16
	v_mul_lo_u16_sdwa v17, v89, s12 dst_sel:DWORD dst_unused:UNUSED_PAD src0_sel:BYTE_0 src1_sel:DWORD
	v_lshrrev_b16_e32 v56, 10, v17
	v_mul_lo_u16_e32 v17, 13, v56
	v_sub_u16_e32 v57, v89, v17
	s_movk_i32 s12, 0xc3
	v_lshlrev_b32_sdwa v24, v16, v57 dst_sel:DWORD dst_unused:UNUSED_PAD src0_sel:DWORD src1_sel:BYTE_0
	s_movk_i32 s13, 0x4ec5
	v_add_co_u32_e32 v90, vcc, s12, v183
	global_load_dwordx4 v[20:23], v24, s[4:5]
	global_load_dwordx4 v[16:19], v24, s[4:5] offset:16
	v_mul_u32_u24_sdwa v24, v90, s13 dst_sel:DWORD dst_unused:UNUSED_PAD src0_sel:WORD_0 src1_sel:DWORD
	v_lshrrev_b32_e32 v58, 18, v24
	v_mul_lo_u16_e32 v24, 13, v58
	v_sub_u16_e32 v59, v90, v24
	v_lshlrev_b16_e32 v24, 2, v59
	s_movk_i32 s12, 0x104
	v_lshlrev_b32_e32 v32, 3, v24
	v_add_co_u32_e32 v96, vcc, s12, v183
	global_load_dwordx4 v[28:31], v32, s[4:5]
	global_load_dwordx4 v[24:27], v32, s[4:5] offset:16
	v_mul_u32_u24_sdwa v32, v96, s13 dst_sel:DWORD dst_unused:UNUSED_PAD src0_sel:WORD_0 src1_sel:DWORD
	v_lshrrev_b32_e32 v60, 18, v32
	v_mul_lo_u16_e32 v32, 13, v60
	v_sub_u16_e32 v61, v96, v32
	v_lshlrev_b16_e32 v32, 2, v61
	v_lshlrev_b32_e32 v40, 3, v32
	ds_read2_b64 v[44:47], v193 offset1:65
	global_load_dwordx4 v[32:35], v40, s[4:5] offset:16
	global_load_dwordx4 v[36:39], v40, s[4:5]
	v_add_u32_e32 v112, 0x800, v193
	v_add_u32_e32 v120, 0x1000, v193
	;; [unrolled: 1-line block ×5, first 2 shown]
	ds_read2_b64 v[48:51], v193 offset0:130 offset1:195
	ds_read_b64 v[86:87], v193 offset:12480
	ds_read2_b64 v[40:43], v112 offset0:4 offset1:69
	ds_read2_b64 v[62:65], v120 offset0:138 offset1:203
	;; [unrolled: 1-line block ×10, first 2 shown]
	v_mul_u32_u24_e32 v52, 0x41, v52
	v_add_u32_sdwa v52, v52, v53 dst_sel:DWORD dst_unused:UNUSED_PAD src0_sel:DWORD src1_sel:BYTE_0
	v_lshl_add_u32 v194, v52, 3, v162
	s_waitcnt vmcnt(0) lgkmcnt(0)
	s_barrier
	s_movk_i32 s12, 0xfd
	v_lshl_add_u32 v247, v183, 3, v162
	v_mul_f32_e32 v95, v43, v5
	v_mul_f32_e32 v109, v68, v249
	;; [unrolled: 1-line block ×5, first 2 shown]
	v_fma_f32 v95, v42, v4, -v95
	v_fmac_f32_e32 v109, v69, v248
	v_fma_f32 v69, v70, v250, -v110
	v_mul_f32_e32 v106, v63, v7
	v_mul_f32_e32 v110, v74, v13
	;; [unrolled: 1-line block ×4, first 2 shown]
	v_fmac_f32_e32 v110, v75, v12
	v_fma_f32 v75, v64, v14, -v42
	v_mul_f32_e32 v42, v79, v9
	v_fma_f32 v114, v78, v8, -v42
	v_mul_f32_e32 v78, v78, v9
	v_mul_f32_e32 v42, v73, v11
	v_fmac_f32_e32 v78, v79, v8
	v_fma_f32 v79, v72, v10, -v42
	v_mul_f32_e32 v42, v77, v21
	v_fma_f32 v116, v76, v20, -v42
	v_mul_f32_e32 v42, v83, v23
	v_fma_f32 v118, v82, v22, -v42
	v_mul_f32_e32 v119, v82, v23
	v_mul_f32_e32 v42, v81, v17
	v_fmac_f32_e32 v119, v83, v22
	v_fma_f32 v83, v80, v16, -v42
	v_mul_f32_e32 v124, v80, v17
	v_mul_f32_e32 v42, v92, v19
	v_fmac_f32_e32 v124, v81, v16
	v_fma_f32 v81, v91, v18, -v42
	v_mul_f32_e32 v91, v91, v19
	;; [unrolled: 4-line block ×3, first 2 shown]
	v_mul_f32_e32 v42, v85, v31
	v_fma_f32 v106, v62, v6, -v106
	v_fma_f32 v68, v68, v248, -v108
	v_fmac_f32_e32 v97, v98, v28
	v_fma_f32 v98, v84, v30, -v42
	v_mul_f32_e32 v42, v102, v25
	v_mul_f32_e32 v111, v70, v251
	v_fmac_f32_e32 v105, v43, v4
	v_fma_f32 v126, v101, v24, -v42
	v_mul_f32_e32 v101, v101, v25
	v_mul_f32_e32 v42, v94, v27
	v_add_f32_e32 v43, v106, v68
	v_mul_f32_e32 v107, v62, v7
	v_fmac_f32_e32 v111, v71, v250
	v_fmac_f32_e32 v101, v102, v24
	v_fma_f32 v102, v93, v26, -v42
	v_mul_f32_e32 v42, v100, v37
	v_fma_f32 v62, -0.5, v43, v44
	v_fmac_f32_e32 v107, v63, v6
	v_fma_f32 v108, v74, v12, -v113
	v_mul_f32_e32 v113, v64, v15
	v_fma_f32 v128, v99, v36, -v42
	v_mul_f32_e32 v42, v67, v39
	v_sub_f32_e32 v43, v105, v111
	v_mov_b32_e32 v64, v62
	v_fmac_f32_e32 v113, v65, v14
	v_fma_f32 v130, v66, v38, -v42
	v_mul_f32_e32 v131, v66, v39
	v_fmac_f32_e32 v64, 0x3f737871, v43
	v_sub_f32_e32 v63, v107, v109
	v_sub_f32_e32 v65, v95, v106
	;; [unrolled: 1-line block ×3, first 2 shown]
	v_fmac_f32_e32 v62, 0xbf737871, v43
	v_mul_f32_e32 v42, v104, v33
	v_fmac_f32_e32 v64, 0x3f167918, v63
	v_add_f32_e32 v65, v65, v66
	v_fmac_f32_e32 v62, 0xbf167918, v63
	v_fma_f32 v132, v103, v32, -v42
	v_mul_f32_e32 v133, v103, v33
	v_mul_f32_e32 v42, v87, v35
	v_fmac_f32_e32 v64, 0x3e9e377a, v65
	v_fmac_f32_e32 v62, 0x3e9e377a, v65
	v_add_f32_e32 v65, v95, v69
	v_fmac_f32_e32 v133, v104, v32
	v_fma_f32 v104, v86, v34, -v42
	v_add_f32_e32 v42, v44, v95
	v_fma_f32 v44, -0.5, v65, v44
	v_mov_b32_e32 v66, v44
	v_fmac_f32_e32 v131, v67, v38
	v_add_f32_e32 v42, v42, v106
	v_fmac_f32_e32 v66, 0xbf737871, v63
	v_sub_f32_e32 v65, v106, v95
	v_sub_f32_e32 v67, v68, v69
	v_fmac_f32_e32 v44, 0x3f737871, v63
	v_add_f32_e32 v63, v107, v109
	v_add_f32_e32 v42, v42, v68
	v_fmac_f32_e32 v66, 0x3f167918, v43
	v_add_f32_e32 v65, v65, v67
	v_fmac_f32_e32 v44, 0xbf167918, v43
	v_fma_f32 v63, -0.5, v63, v45
	v_add_f32_e32 v42, v42, v69
	v_fmac_f32_e32 v66, 0x3e9e377a, v65
	v_fmac_f32_e32 v44, 0x3e9e377a, v65
	v_sub_f32_e32 v69, v95, v69
	v_mov_b32_e32 v65, v63
	v_fmac_f32_e32 v65, 0xbf737871, v69
	v_sub_f32_e32 v68, v106, v68
	v_sub_f32_e32 v67, v105, v107
	;; [unrolled: 1-line block ×3, first 2 shown]
	v_fmac_f32_e32 v63, 0x3f737871, v69
	v_fmac_f32_e32 v65, 0xbf167918, v68
	v_add_f32_e32 v67, v67, v70
	v_fmac_f32_e32 v63, 0x3f167918, v68
	v_fmac_f32_e32 v65, 0x3e9e377a, v67
	;; [unrolled: 1-line block ×3, first 2 shown]
	v_add_f32_e32 v67, v105, v111
	v_add_f32_e32 v43, v45, v105
	v_fma_f32 v45, -0.5, v67, v45
	v_mov_b32_e32 v67, v45
	v_fmac_f32_e32 v67, 0x3f737871, v68
	v_sub_f32_e32 v70, v107, v105
	v_sub_f32_e32 v71, v109, v111
	v_fmac_f32_e32 v45, 0xbf737871, v68
	v_mul_f32_e32 v115, v72, v11
	v_fmac_f32_e32 v67, 0xbf167918, v69
	v_add_f32_e32 v70, v70, v71
	v_fmac_f32_e32 v45, 0x3f167918, v69
	v_add_f32_e32 v69, v75, v114
	v_fmac_f32_e32 v115, v73, v10
	v_fmac_f32_e32 v67, 0x3e9e377a, v70
	;; [unrolled: 1-line block ×3, first 2 shown]
	v_fma_f32 v70, -0.5, v69, v46
	v_sub_f32_e32 v69, v110, v115
	v_mov_b32_e32 v72, v70
	v_fmac_f32_e32 v72, 0x3f737871, v69
	v_sub_f32_e32 v71, v113, v78
	v_sub_f32_e32 v73, v108, v75
	;; [unrolled: 1-line block ×3, first 2 shown]
	v_fmac_f32_e32 v70, 0xbf737871, v69
	v_fmac_f32_e32 v72, 0x3f167918, v71
	v_add_f32_e32 v73, v73, v74
	v_fmac_f32_e32 v70, 0xbf167918, v71
	v_fmac_f32_e32 v72, 0x3e9e377a, v73
	;; [unrolled: 1-line block ×3, first 2 shown]
	v_add_f32_e32 v73, v108, v79
	v_add_f32_e32 v68, v46, v108
	v_fma_f32 v46, -0.5, v73, v46
	v_mov_b32_e32 v74, v46
	v_mul_f32_e32 v117, v76, v21
	v_fmac_f32_e32 v74, 0xbf737871, v71
	v_sub_f32_e32 v73, v75, v108
	v_sub_f32_e32 v76, v114, v79
	v_fmac_f32_e32 v46, 0x3f737871, v71
	v_add_f32_e32 v71, v113, v78
	v_add_f32_e32 v68, v68, v75
	v_fmac_f32_e32 v74, 0x3f167918, v69
	v_add_f32_e32 v73, v73, v76
	v_fmac_f32_e32 v46, 0xbf167918, v69
	v_fma_f32 v71, -0.5, v71, v47
	v_add_f32_e32 v68, v68, v114
	v_fmac_f32_e32 v74, 0x3e9e377a, v73
	v_fmac_f32_e32 v46, 0x3e9e377a, v73
	v_sub_f32_e32 v76, v108, v79
	v_mov_b32_e32 v73, v71
	v_fmac_f32_e32 v117, v77, v20
	v_add_f32_e32 v68, v68, v79
	v_fmac_f32_e32 v73, 0xbf737871, v76
	v_sub_f32_e32 v77, v75, v114
	v_sub_f32_e32 v75, v110, v113
	;; [unrolled: 1-line block ×3, first 2 shown]
	v_fmac_f32_e32 v71, 0x3f737871, v76
	v_fmac_f32_e32 v73, 0xbf167918, v77
	v_add_f32_e32 v75, v75, v79
	v_fmac_f32_e32 v71, 0x3f167918, v77
	v_fmac_f32_e32 v73, 0x3e9e377a, v75
	;; [unrolled: 1-line block ×3, first 2 shown]
	v_add_f32_e32 v75, v110, v115
	v_add_f32_e32 v69, v47, v110
	v_fmac_f32_e32 v47, -0.5, v75
	v_add_f32_e32 v69, v69, v113
	v_mov_b32_e32 v75, v47
	v_add_f32_e32 v69, v69, v78
	v_fmac_f32_e32 v75, 0x3f737871, v77
	v_sub_f32_e32 v79, v113, v110
	v_sub_f32_e32 v78, v78, v115
	v_fmac_f32_e32 v47, 0xbf737871, v77
	v_fmac_f32_e32 v75, 0xbf167918, v76
	v_add_f32_e32 v78, v79, v78
	v_fmac_f32_e32 v47, 0x3f167918, v76
	v_add_f32_e32 v77, v118, v83
	v_fmac_f32_e32 v75, 0x3e9e377a, v78
	v_fmac_f32_e32 v47, 0x3e9e377a, v78
	v_fma_f32 v78, -0.5, v77, v48
	v_sub_f32_e32 v77, v117, v91
	v_mov_b32_e32 v80, v78
	v_mul_f32_e32 v125, v84, v31
	v_fmac_f32_e32 v80, 0x3f737871, v77
	v_sub_f32_e32 v79, v119, v124
	v_sub_f32_e32 v82, v116, v118
	;; [unrolled: 1-line block ×3, first 2 shown]
	v_fmac_f32_e32 v78, 0xbf737871, v77
	v_fmac_f32_e32 v80, 0x3f167918, v79
	v_add_f32_e32 v82, v82, v84
	v_fmac_f32_e32 v78, 0xbf167918, v79
	v_fmac_f32_e32 v80, 0x3e9e377a, v82
	;; [unrolled: 1-line block ×3, first 2 shown]
	v_add_f32_e32 v82, v116, v81
	v_add_f32_e32 v76, v48, v116
	v_fma_f32 v48, -0.5, v82, v48
	v_mov_b32_e32 v82, v48
	v_fmac_f32_e32 v125, v85, v30
	v_add_f32_e32 v76, v76, v118
	v_fmac_f32_e32 v82, 0xbf737871, v79
	v_sub_f32_e32 v84, v118, v116
	v_sub_f32_e32 v85, v83, v81
	v_fmac_f32_e32 v48, 0x3f737871, v79
	v_add_f32_e32 v79, v119, v124
	v_add_f32_e32 v76, v76, v83
	v_fmac_f32_e32 v82, 0x3f167918, v77
	v_add_f32_e32 v84, v84, v85
	v_fmac_f32_e32 v48, 0xbf167918, v77
	v_fma_f32 v79, -0.5, v79, v49
	v_add_f32_e32 v76, v76, v81
	v_fmac_f32_e32 v82, 0x3e9e377a, v84
	v_fmac_f32_e32 v48, 0x3e9e377a, v84
	v_sub_f32_e32 v84, v116, v81
	v_mov_b32_e32 v81, v79
	v_mul_f32_e32 v134, v86, v35
	v_fmac_f32_e32 v81, 0xbf737871, v84
	v_sub_f32_e32 v85, v118, v83
	v_sub_f32_e32 v83, v117, v119
	;; [unrolled: 1-line block ×3, first 2 shown]
	v_fmac_f32_e32 v79, 0x3f737871, v84
	v_fmac_f32_e32 v81, 0xbf167918, v85
	v_add_f32_e32 v83, v83, v86
	v_fmac_f32_e32 v79, 0x3f167918, v85
	v_fmac_f32_e32 v81, 0x3e9e377a, v83
	v_fmac_f32_e32 v79, 0x3e9e377a, v83
	v_add_f32_e32 v83, v117, v91
	v_add_f32_e32 v77, v49, v117
	v_fma_f32 v49, -0.5, v83, v49
	v_mov_b32_e32 v83, v49
	v_fmac_f32_e32 v134, v87, v34
	v_fmac_f32_e32 v83, 0x3f737871, v85
	v_sub_f32_e32 v86, v119, v117
	v_sub_f32_e32 v87, v124, v91
	v_fmac_f32_e32 v49, 0xbf737871, v85
	v_mul_f32_e32 v127, v93, v27
	v_add_f32_e32 v77, v77, v119
	v_fmac_f32_e32 v83, 0xbf167918, v84
	v_add_f32_e32 v86, v86, v87
	v_fmac_f32_e32 v49, 0x3f167918, v84
	;; [unrolled: 2-line block ×4, first 2 shown]
	v_fmac_f32_e32 v49, 0x3e9e377a, v86
	v_fma_f32 v86, -0.5, v85, v50
	v_add_f32_e32 v77, v77, v91
	v_sub_f32_e32 v85, v97, v127
	v_mov_b32_e32 v91, v86
	v_fmac_f32_e32 v91, 0x3f737871, v85
	v_sub_f32_e32 v87, v125, v101
	v_sub_f32_e32 v93, v92, v98
	;; [unrolled: 1-line block ×3, first 2 shown]
	v_fmac_f32_e32 v86, 0xbf737871, v85
	v_fmac_f32_e32 v91, 0x3f167918, v87
	v_add_f32_e32 v93, v93, v94
	v_fmac_f32_e32 v86, 0xbf167918, v87
	v_fmac_f32_e32 v91, 0x3e9e377a, v93
	;; [unrolled: 1-line block ×3, first 2 shown]
	v_add_f32_e32 v93, v92, v102
	v_add_f32_e32 v84, v50, v92
	v_fma_f32 v50, -0.5, v93, v50
	v_mov_b32_e32 v93, v50
	v_fmac_f32_e32 v93, 0xbf737871, v87
	v_fmac_f32_e32 v50, 0x3f737871, v87
	v_add_f32_e32 v87, v125, v101
	v_sub_f32_e32 v94, v98, v92
	v_sub_f32_e32 v95, v126, v102
	v_fma_f32 v87, -0.5, v87, v51
	v_fmac_f32_e32 v93, 0x3f167918, v85
	v_add_f32_e32 v94, v94, v95
	v_fmac_f32_e32 v50, 0xbf167918, v85
	v_sub_f32_e32 v95, v92, v102
	v_mov_b32_e32 v92, v87
	v_mul_f32_e32 v129, v99, v37
	v_add_f32_e32 v84, v84, v98
	v_fmac_f32_e32 v93, 0x3e9e377a, v94
	v_fmac_f32_e32 v50, 0x3e9e377a, v94
	v_fmac_f32_e32 v92, 0xbf737871, v95
	v_sub_f32_e32 v98, v98, v126
	v_sub_f32_e32 v94, v97, v125
	;; [unrolled: 1-line block ×3, first 2 shown]
	v_fmac_f32_e32 v87, 0x3f737871, v95
	v_fmac_f32_e32 v92, 0xbf167918, v98
	v_add_f32_e32 v94, v94, v99
	v_fmac_f32_e32 v87, 0x3f167918, v98
	v_fmac_f32_e32 v92, 0x3e9e377a, v94
	;; [unrolled: 1-line block ×3, first 2 shown]
	v_add_f32_e32 v94, v97, v127
	v_add_f32_e32 v85, v51, v97
	v_fmac_f32_e32 v51, -0.5, v94
	v_mov_b32_e32 v94, v51
	v_fmac_f32_e32 v94, 0x3f737871, v98
	v_fmac_f32_e32 v51, 0xbf737871, v98
	;; [unrolled: 1-line block ×4, first 2 shown]
	v_add_f32_e32 v95, v40, v128
	v_sub_f32_e32 v97, v125, v97
	v_sub_f32_e32 v99, v101, v127
	v_add_f32_e32 v95, v95, v130
	v_add_f32_e32 v97, v97, v99
	;; [unrolled: 1-line block ×3, first 2 shown]
	v_fmac_f32_e32 v94, 0x3e9e377a, v97
	v_fmac_f32_e32 v51, 0x3e9e377a, v97
	v_add_f32_e32 v97, v95, v104
	v_add_f32_e32 v95, v130, v132
	v_fmac_f32_e32 v129, v100, v36
	v_add_f32_e32 v85, v85, v125
	v_fma_f32 v99, -0.5, v95, v40
	v_add_f32_e32 v84, v84, v126
	v_add_f32_e32 v85, v85, v101
	v_sub_f32_e32 v95, v129, v134
	v_mov_b32_e32 v101, v99
	v_add_f32_e32 v84, v84, v102
	v_fmac_f32_e32 v101, 0x3f737871, v95
	v_sub_f32_e32 v98, v131, v133
	v_sub_f32_e32 v100, v128, v130
	;; [unrolled: 1-line block ×3, first 2 shown]
	v_fmac_f32_e32 v99, 0xbf737871, v95
	v_fmac_f32_e32 v101, 0x3f167918, v98
	v_add_f32_e32 v100, v100, v102
	v_fmac_f32_e32 v99, 0xbf167918, v98
	v_fmac_f32_e32 v101, 0x3e9e377a, v100
	;; [unrolled: 1-line block ×3, first 2 shown]
	v_add_f32_e32 v100, v128, v104
	v_fma_f32 v40, -0.5, v100, v40
	v_mov_b32_e32 v103, v40
	v_fmac_f32_e32 v103, 0xbf737871, v98
	v_fmac_f32_e32 v40, 0x3f737871, v98
	;; [unrolled: 1-line block ×4, first 2 shown]
	v_add_f32_e32 v95, v41, v129
	v_add_f32_e32 v43, v43, v107
	;; [unrolled: 1-line block ×4, first 2 shown]
	v_sub_f32_e32 v100, v130, v128
	v_sub_f32_e32 v102, v132, v104
	v_add_f32_e32 v95, v95, v133
	v_add_f32_e32 v43, v43, v111
	;; [unrolled: 1-line block ×5, first 2 shown]
	v_fmac_f32_e32 v103, 0x3e9e377a, v100
	v_fmac_f32_e32 v40, 0x3e9e377a, v100
	v_fma_f32 v100, -0.5, v95, v41
	ds_write2_b64 v194, v[42:43], v[64:65] offset1:13
	ds_write2_b64 v194, v[66:67], v[44:45] offset0:26 offset1:39
	ds_write_b64 v194, v[62:63] offset:416
	v_mul_u32_u24_e32 v42, 0x41, v54
	v_sub_f32_e32 v95, v128, v104
	v_mov_b32_e32 v102, v100
	v_add_u32_sdwa v42, v42, v55 dst_sel:DWORD dst_unused:UNUSED_PAD src0_sel:DWORD src1_sel:BYTE_0
	v_fmac_f32_e32 v102, 0xbf737871, v95
	v_sub_f32_e32 v105, v130, v132
	v_sub_f32_e32 v104, v129, v131
	;; [unrolled: 1-line block ×3, first 2 shown]
	v_fmac_f32_e32 v100, 0x3f737871, v95
	v_lshl_add_u32 v205, v42, 3, v162
	v_mul_u32_u24_e32 v42, 0x41, v56
	v_fmac_f32_e32 v102, 0xbf167918, v105
	v_add_f32_e32 v104, v104, v106
	v_fmac_f32_e32 v100, 0x3f167918, v105
	v_add_u32_sdwa v42, v42, v57 dst_sel:DWORD dst_unused:UNUSED_PAD src0_sel:DWORD src1_sel:BYTE_0
	v_add_f32_e32 v69, v69, v115
	v_fmac_f32_e32 v102, 0x3e9e377a, v104
	v_fmac_f32_e32 v100, 0x3e9e377a, v104
	v_add_f32_e32 v104, v129, v134
	v_lshl_add_u32 v206, v42, 3, v162
	v_fmac_f32_e32 v41, -0.5, v104
	ds_write2_b64 v205, v[68:69], v[72:73] offset1:13
	ds_write2_b64 v205, v[74:75], v[46:47] offset0:26 offset1:39
	ds_write_b64 v205, v[70:71] offset:416
	ds_write2_b64 v206, v[76:77], v[80:81] offset1:13
	ds_write2_b64 v206, v[82:83], v[48:49] offset0:26 offset1:39
	ds_write_b64 v206, v[78:79] offset:416
	v_mul_lo_u16_sdwa v48, v89, s12 dst_sel:DWORD dst_unused:UNUSED_PAD src0_sel:BYTE_0 src1_sel:DWORD
	v_mov_b32_e32 v104, v41
	v_sub_f32_e32 v106, v131, v129
	v_sub_f32_e32 v107, v133, v134
	v_fmac_f32_e32 v41, 0xbf737871, v105
	v_mad_legacy_u16 v42, v58, s14, v59
	v_lshrrev_b16_e32 v48, 14, v48
	v_add_f32_e32 v85, v85, v127
	v_fmac_f32_e32 v104, 0x3f737871, v105
	v_add_f32_e32 v106, v106, v107
	v_fmac_f32_e32 v41, 0x3f167918, v95
	v_lshl_add_u32 v252, v42, 3, v162
	v_mad_legacy_u16 v42, v60, s14, v61
	v_mul_lo_u16_e32 v48, 0x41, v48
	v_fmac_f32_e32 v104, 0xbf167918, v95
	v_fmac_f32_e32 v41, 0x3e9e377a, v106
	ds_write2_b64 v252, v[84:85], v[91:92] offset1:13
	ds_write2_b64 v252, v[93:94], v[50:51] offset0:26 offset1:39
	ds_write_b64 v252, v[86:87] offset:416
	v_lshl_add_u32 v253, v42, 3, v162
	v_lshlrev_b32_e32 v91, 5, v183
	v_sub_u16_e32 v48, v89, v48
	v_fmac_f32_e32 v104, 0x3e9e377a, v106
	ds_write2_b64 v253, v[97:98], v[101:102] offset1:13
	ds_write2_b64 v253, v[103:104], v[40:41] offset0:26 offset1:39
	ds_write_b64 v253, v[99:100] offset:416
	s_waitcnt lgkmcnt(0)
	s_barrier
	global_load_dwordx4 v[44:47], v91, s[4:5] offset:416
	global_load_dwordx4 v[40:43], v91, s[4:5] offset:432
	v_and_b32_e32 v84, 0xff, v48
	v_lshlrev_b32_e32 v56, 5, v84
	s_movk_i32 s12, 0xfc1
	global_load_dwordx4 v[52:55], v56, s[4:5] offset:416
	global_load_dwordx4 v[48:51], v56, s[4:5] offset:432
	v_mul_u32_u24_sdwa v56, v90, s12 dst_sel:DWORD dst_unused:UNUSED_PAD src0_sel:WORD_0 src1_sel:DWORD
	v_lshrrev_b32_e32 v56, 18, v56
	v_mul_lo_u16_e32 v56, 0x41, v56
	v_sub_u16_e32 v85, v90, v56
	v_lshlrev_b16_e32 v56, 5, v85
	v_mov_b32_e32 v66, s5
	v_add_co_u32_e32 v64, vcc, s4, v56
	v_addc_co_u32_e32 v65, vcc, 0, v66, vcc
	global_load_dwordx4 v[60:63], v[64:65], off offset:416
	global_load_dwordx4 v[56:59], v[64:65], off offset:432
	v_mul_u32_u24_sdwa v64, v96, s12 dst_sel:DWORD dst_unused:UNUSED_PAD src0_sel:WORD_0 src1_sel:DWORD
	v_lshrrev_b32_e32 v64, 18, v64
	v_mul_lo_u16_e32 v64, 0x41, v64
	v_sub_u16_e32 v86, v96, v64
	v_lshlrev_b16_e32 v64, 5, v86
	v_add_co_u32_e32 v72, vcc, s4, v64
	v_addc_co_u32_e32 v73, vcc, 0, v66, vcc
	global_load_dwordx4 v[68:71], v[72:73], off offset:416
	global_load_dwordx4 v[64:67], v[72:73], off offset:432
	ds_read2_b64 v[80:83], v193 offset1:65
	ds_read2_b64 v[72:75], v112 offset0:4 offset1:69
	ds_read2_b64 v[92:95], v120 offset0:138 offset1:203
	;; [unrolled: 1-line block ×11, first 2 shown]
	ds_read_b64 v[109:110], v193 offset:12480
	v_lshl_add_u32 v254, v84, 3, v162
	s_waitcnt vmcnt(0) lgkmcnt(0)
	s_barrier
	v_lshl_add_u32 v255, v85, 3, v162
	v_lshl_add_u32 v0, v86, 3, v162
	v_mul_f32_e32 v87, v75, v45
	v_fma_f32 v87, v74, v44, -v87
	v_mul_f32_e32 v111, v74, v45
	v_mul_f32_e32 v74, v93, v47
	v_fma_f32 v117, v92, v46, -v74
	v_mul_f32_e32 v74, v100, v41
	v_fma_f32 v119, v99, v40, -v74
	v_mul_f32_e32 v99, v99, v41
	v_mul_f32_e32 v74, v102, v43
	v_fmac_f32_e32 v99, v100, v40
	v_fma_f32 v100, v101, v42, -v74
	v_mul_f32_e32 v74, v106, v45
	v_fma_f32 v140, v105, v44, -v74
	v_mul_f32_e32 v141, v105, v45
	v_mul_f32_e32 v74, v95, v47
	v_fmac_f32_e32 v141, v106, v44
	v_fma_f32 v106, v94, v46, -v74
	v_mul_f32_e32 v74, v114, v41
	v_fma_f32 v143, v113, v40, -v74
	v_mul_f32_e32 v113, v113, v41
	v_mul_f32_e32 v74, v104, v43
	v_fmac_f32_e32 v113, v114, v40
	v_fma_f32 v114, v103, v42, -v74
	v_mul_f32_e32 v74, v108, v53
	v_fma_f32 v145, v107, v52, -v74
	v_mul_f32_e32 v74, v125, v55
	v_fma_f32 v147, v124, v54, -v74
	v_mul_f32_e32 v124, v124, v55
	v_mul_f32_e32 v74, v116, v49
	v_fmac_f32_e32 v124, v125, v54
	v_fma_f32 v125, v115, v48, -v74
	v_mul_f32_e32 v148, v115, v49
	v_mul_f32_e32 v74, v129, v51
	v_fmac_f32_e32 v148, v116, v48
	v_fma_f32 v116, v128, v50, -v74
	v_mul_f32_e32 v128, v128, v51
	;; [unrolled: 4-line block ×4, first 2 shown]
	v_fmac_f32_e32 v111, v75, v44
	v_mul_f32_e32 v101, v101, v43
	v_mul_f32_e32 v149, v126, v63
	v_fma_f32 v150, v136, v56, -v74
	v_mul_f32_e32 v74, v131, v59
	v_add_f32_e32 v75, v117, v119
	v_mul_f32_e32 v118, v92, v47
	v_fmac_f32_e32 v101, v102, v42
	v_fmac_f32_e32 v149, v127, v62
	v_mul_f32_e32 v136, v136, v57
	v_fma_f32 v127, v130, v58, -v74
	v_mul_f32_e32 v74, v135, v69
	v_fma_f32 v92, -0.5, v75, v80
	v_fmac_f32_e32 v118, v93, v46
	v_mul_f32_e32 v142, v94, v47
	v_fmac_f32_e32 v136, v137, v56
	v_fma_f32 v137, v134, v68, -v74
	v_mul_f32_e32 v74, v98, v71
	v_sub_f32_e32 v75, v111, v101
	v_mov_b32_e32 v94, v92
	v_fmac_f32_e32 v142, v95, v46
	v_fma_f32 v152, v97, v70, -v74
	v_mul_f32_e32 v153, v97, v71
	v_fmac_f32_e32 v94, 0x3f737871, v75
	v_sub_f32_e32 v93, v118, v99
	v_sub_f32_e32 v95, v87, v117
	;; [unrolled: 1-line block ×3, first 2 shown]
	v_fmac_f32_e32 v92, 0xbf737871, v75
	v_mul_f32_e32 v74, v139, v65
	v_fmac_f32_e32 v94, 0x3f167918, v93
	v_add_f32_e32 v95, v95, v97
	v_fmac_f32_e32 v92, 0xbf167918, v93
	v_mul_f32_e32 v151, v134, v69
	v_fma_f32 v154, v138, v64, -v74
	v_mul_f32_e32 v74, v110, v67
	v_fmac_f32_e32 v94, 0x3e9e377a, v95
	v_fmac_f32_e32 v92, 0x3e9e377a, v95
	v_add_f32_e32 v95, v87, v100
	v_fmac_f32_e32 v151, v135, v68
	v_fma_f32 v135, v109, v66, -v74
	v_add_f32_e32 v74, v80, v87
	v_fma_f32 v80, -0.5, v95, v80
	v_mov_b32_e32 v97, v80
	v_fmac_f32_e32 v153, v98, v70
	v_fmac_f32_e32 v97, 0xbf737871, v93
	v_sub_f32_e32 v95, v117, v87
	v_sub_f32_e32 v98, v119, v100
	v_fmac_f32_e32 v80, 0x3f737871, v93
	v_add_f32_e32 v93, v118, v99
	v_add_f32_e32 v74, v74, v117
	v_fmac_f32_e32 v97, 0x3f167918, v75
	v_add_f32_e32 v95, v95, v98
	v_fmac_f32_e32 v80, 0xbf167918, v75
	v_fma_f32 v93, -0.5, v93, v81
	v_add_f32_e32 v74, v74, v119
	v_fmac_f32_e32 v97, 0x3e9e377a, v95
	v_fmac_f32_e32 v80, 0x3e9e377a, v95
	v_sub_f32_e32 v87, v87, v100
	v_mov_b32_e32 v95, v93
	v_add_f32_e32 v74, v74, v100
	v_fmac_f32_e32 v95, 0xbf737871, v87
	v_sub_f32_e32 v100, v117, v119
	v_sub_f32_e32 v98, v111, v118
	;; [unrolled: 1-line block ×3, first 2 shown]
	v_fmac_f32_e32 v93, 0x3f737871, v87
	v_fmac_f32_e32 v95, 0xbf167918, v100
	v_add_f32_e32 v98, v98, v102
	v_fmac_f32_e32 v93, 0x3f167918, v100
	v_fmac_f32_e32 v95, 0x3e9e377a, v98
	;; [unrolled: 1-line block ×3, first 2 shown]
	v_add_f32_e32 v98, v111, v101
	v_add_f32_e32 v75, v81, v111
	v_fma_f32 v81, -0.5, v98, v81
	v_mov_b32_e32 v98, v81
	v_fmac_f32_e32 v98, 0x3f737871, v100
	v_fmac_f32_e32 v81, 0xbf737871, v100
	v_add_f32_e32 v75, v75, v118
	v_fmac_f32_e32 v98, 0xbf167918, v87
	v_fmac_f32_e32 v81, 0x3f167918, v87
	v_add_f32_e32 v87, v82, v140
	v_add_f32_e32 v75, v75, v99
	v_sub_f32_e32 v102, v118, v111
	v_sub_f32_e32 v99, v99, v101
	v_add_f32_e32 v87, v87, v106
	v_add_f32_e32 v99, v102, v99
	;; [unrolled: 1-line block ×3, first 2 shown]
	v_mul_f32_e32 v144, v103, v43
	v_fmac_f32_e32 v98, 0x3e9e377a, v99
	v_fmac_f32_e32 v81, 0x3e9e377a, v99
	v_add_f32_e32 v99, v87, v114
	v_add_f32_e32 v87, v106, v143
	v_fmac_f32_e32 v144, v104, v42
	v_add_f32_e32 v75, v75, v101
	v_fma_f32 v101, -0.5, v87, v82
	v_sub_f32_e32 v87, v141, v144
	v_mov_b32_e32 v103, v101
	v_fmac_f32_e32 v103, 0x3f737871, v87
	v_sub_f32_e32 v100, v142, v113
	v_sub_f32_e32 v102, v140, v106
	;; [unrolled: 1-line block ×3, first 2 shown]
	v_fmac_f32_e32 v101, 0xbf737871, v87
	v_fmac_f32_e32 v103, 0x3f167918, v100
	v_add_f32_e32 v102, v102, v104
	v_fmac_f32_e32 v101, 0xbf167918, v100
	v_fmac_f32_e32 v103, 0x3e9e377a, v102
	;; [unrolled: 1-line block ×3, first 2 shown]
	v_add_f32_e32 v102, v140, v114
	v_fma_f32 v82, -0.5, v102, v82
	v_mov_b32_e32 v105, v82
	v_fmac_f32_e32 v105, 0xbf737871, v100
	v_fmac_f32_e32 v82, 0x3f737871, v100
	;; [unrolled: 1-line block ×4, first 2 shown]
	v_add_f32_e32 v87, v83, v141
	v_add_f32_e32 v87, v87, v142
	v_sub_f32_e32 v102, v106, v140
	v_sub_f32_e32 v104, v143, v114
	v_add_f32_e32 v87, v87, v113
	v_add_f32_e32 v102, v102, v104
	;; [unrolled: 1-line block ×4, first 2 shown]
	v_fmac_f32_e32 v105, 0x3e9e377a, v102
	v_fmac_f32_e32 v82, 0x3e9e377a, v102
	v_fma_f32 v102, -0.5, v87, v83
	v_mul_f32_e32 v146, v107, v53
	v_sub_f32_e32 v87, v140, v114
	v_mov_b32_e32 v104, v102
	v_fmac_f32_e32 v146, v108, v52
	v_fmac_f32_e32 v104, 0xbf737871, v87
	v_sub_f32_e32 v107, v106, v143
	v_sub_f32_e32 v106, v141, v142
	;; [unrolled: 1-line block ×3, first 2 shown]
	v_fmac_f32_e32 v102, 0x3f737871, v87
	v_fmac_f32_e32 v104, 0xbf167918, v107
	v_add_f32_e32 v106, v106, v108
	v_fmac_f32_e32 v102, 0x3f167918, v107
	v_fmac_f32_e32 v104, 0x3e9e377a, v106
	v_fmac_f32_e32 v102, 0x3e9e377a, v106
	v_add_f32_e32 v106, v141, v144
	v_fmac_f32_e32 v83, -0.5, v106
	v_mov_b32_e32 v106, v83
	v_fmac_f32_e32 v106, 0x3f737871, v107
	v_fmac_f32_e32 v83, 0xbf737871, v107
	;; [unrolled: 1-line block ×4, first 2 shown]
	v_add_f32_e32 v87, v76, v145
	v_add_f32_e32 v87, v87, v147
	v_mul_f32_e32 v138, v138, v65
	v_add_f32_e32 v87, v87, v125
	v_fmac_f32_e32 v138, v139, v64
	v_mul_f32_e32 v139, v109, v67
	v_sub_f32_e32 v108, v142, v141
	v_sub_f32_e32 v109, v113, v144
	v_add_f32_e32 v107, v87, v116
	v_add_f32_e32 v87, v147, v125
	v_add_f32_e32 v108, v108, v109
	v_fma_f32 v109, -0.5, v87, v76
	v_sub_f32_e32 v87, v146, v128
	v_mov_b32_e32 v113, v109
	v_fmac_f32_e32 v139, v110, v66
	v_fmac_f32_e32 v106, 0x3e9e377a, v108
	;; [unrolled: 1-line block ×4, first 2 shown]
	v_sub_f32_e32 v108, v124, v148
	v_sub_f32_e32 v110, v145, v147
	v_sub_f32_e32 v111, v116, v125
	v_fmac_f32_e32 v109, 0xbf737871, v87
	v_fmac_f32_e32 v113, 0x3f167918, v108
	v_add_f32_e32 v110, v110, v111
	v_fmac_f32_e32 v109, 0xbf167918, v108
	v_fmac_f32_e32 v113, 0x3e9e377a, v110
	;; [unrolled: 1-line block ×3, first 2 shown]
	v_add_f32_e32 v110, v145, v116
	v_fma_f32 v76, -0.5, v110, v76
	v_mov_b32_e32 v115, v76
	v_fmac_f32_e32 v115, 0xbf737871, v108
	v_fmac_f32_e32 v76, 0x3f737871, v108
	;; [unrolled: 1-line block ×4, first 2 shown]
	v_add_f32_e32 v87, v77, v146
	v_add_f32_e32 v87, v87, v124
	v_sub_f32_e32 v110, v147, v145
	v_sub_f32_e32 v111, v125, v116
	v_add_f32_e32 v87, v87, v148
	v_add_f32_e32 v110, v110, v111
	;; [unrolled: 1-line block ×4, first 2 shown]
	v_fmac_f32_e32 v115, 0x3e9e377a, v110
	v_fmac_f32_e32 v76, 0x3e9e377a, v110
	v_fma_f32 v110, -0.5, v87, v77
	v_sub_f32_e32 v87, v145, v116
	v_mov_b32_e32 v114, v110
	v_fmac_f32_e32 v114, 0xbf737871, v87
	v_sub_f32_e32 v111, v147, v125
	v_sub_f32_e32 v116, v146, v124
	;; [unrolled: 1-line block ×3, first 2 shown]
	v_fmac_f32_e32 v110, 0x3f737871, v87
	v_fmac_f32_e32 v114, 0xbf167918, v111
	v_add_f32_e32 v116, v116, v117
	v_fmac_f32_e32 v110, 0x3f167918, v111
	v_fmac_f32_e32 v114, 0x3e9e377a, v116
	;; [unrolled: 1-line block ×3, first 2 shown]
	v_add_f32_e32 v116, v146, v128
	v_fma_f32 v77, -0.5, v116, v77
	v_mov_b32_e32 v116, v77
	v_fmac_f32_e32 v116, 0x3f737871, v111
	v_fmac_f32_e32 v77, 0xbf737871, v111
	;; [unrolled: 1-line block ×4, first 2 shown]
	v_add_f32_e32 v87, v78, v129
	v_sub_f32_e32 v117, v124, v146
	v_sub_f32_e32 v118, v148, v128
	v_add_f32_e32 v87, v87, v133
	v_add_f32_e32 v117, v117, v118
	;; [unrolled: 1-line block ×3, first 2 shown]
	v_mul_f32_e32 v130, v130, v59
	v_fmac_f32_e32 v116, 0x3e9e377a, v117
	v_fmac_f32_e32 v77, 0x3e9e377a, v117
	v_add_f32_e32 v117, v87, v127
	v_add_f32_e32 v87, v133, v150
	v_fmac_f32_e32 v130, v131, v58
	v_fma_f32 v124, -0.5, v87, v78
	v_sub_f32_e32 v87, v132, v130
	v_mov_b32_e32 v126, v124
	v_fmac_f32_e32 v126, 0x3f737871, v87
	v_sub_f32_e32 v111, v149, v136
	v_sub_f32_e32 v118, v129, v133
	;; [unrolled: 1-line block ×3, first 2 shown]
	v_fmac_f32_e32 v124, 0xbf737871, v87
	v_fmac_f32_e32 v126, 0x3f167918, v111
	v_add_f32_e32 v118, v118, v119
	v_fmac_f32_e32 v124, 0xbf167918, v111
	v_fmac_f32_e32 v126, 0x3e9e377a, v118
	;; [unrolled: 1-line block ×3, first 2 shown]
	v_add_f32_e32 v118, v129, v127
	v_fma_f32 v78, -0.5, v118, v78
	v_mov_b32_e32 v128, v78
	v_fmac_f32_e32 v128, 0xbf737871, v111
	v_fmac_f32_e32 v78, 0x3f737871, v111
	;; [unrolled: 1-line block ×4, first 2 shown]
	v_add_f32_e32 v87, v79, v132
	v_sub_f32_e32 v118, v133, v129
	v_sub_f32_e32 v119, v150, v127
	v_add_f32_e32 v87, v87, v149
	v_add_f32_e32 v118, v118, v119
	;; [unrolled: 1-line block ×3, first 2 shown]
	v_fmac_f32_e32 v128, 0x3e9e377a, v118
	v_fmac_f32_e32 v78, 0x3e9e377a, v118
	v_add_f32_e32 v118, v87, v130
	v_add_f32_e32 v87, v149, v136
	v_fma_f32 v125, -0.5, v87, v79
	v_sub_f32_e32 v87, v129, v127
	v_mov_b32_e32 v127, v125
	v_fmac_f32_e32 v127, 0xbf737871, v87
	v_sub_f32_e32 v111, v133, v150
	v_sub_f32_e32 v119, v132, v149
	;; [unrolled: 1-line block ×3, first 2 shown]
	v_fmac_f32_e32 v125, 0x3f737871, v87
	v_fmac_f32_e32 v127, 0xbf167918, v111
	v_add_f32_e32 v119, v119, v129
	v_fmac_f32_e32 v125, 0x3f167918, v111
	v_fmac_f32_e32 v127, 0x3e9e377a, v119
	;; [unrolled: 1-line block ×3, first 2 shown]
	v_add_f32_e32 v119, v132, v130
	v_fmac_f32_e32 v79, -0.5, v119
	v_mov_b32_e32 v129, v79
	v_fmac_f32_e32 v129, 0x3f737871, v111
	v_fmac_f32_e32 v79, 0xbf737871, v111
	;; [unrolled: 1-line block ×4, first 2 shown]
	v_add_f32_e32 v87, v72, v137
	v_add_f32_e32 v87, v87, v152
	v_sub_f32_e32 v119, v149, v132
	v_sub_f32_e32 v130, v136, v130
	v_add_f32_e32 v87, v87, v154
	v_add_f32_e32 v119, v119, v130
	;; [unrolled: 1-line block ×4, first 2 shown]
	v_fma_f32 v132, -0.5, v87, v72
	v_sub_f32_e32 v87, v151, v139
	v_mov_b32_e32 v134, v132
	v_fmac_f32_e32 v129, 0x3e9e377a, v119
	v_fmac_f32_e32 v79, 0x3e9e377a, v119
	v_fmac_f32_e32 v134, 0x3f737871, v87
	v_sub_f32_e32 v111, v153, v138
	v_sub_f32_e32 v119, v137, v152
	;; [unrolled: 1-line block ×3, first 2 shown]
	v_fmac_f32_e32 v132, 0xbf737871, v87
	v_fmac_f32_e32 v134, 0x3f167918, v111
	v_add_f32_e32 v119, v119, v131
	v_fmac_f32_e32 v132, 0xbf167918, v111
	v_fmac_f32_e32 v134, 0x3e9e377a, v119
	v_fmac_f32_e32 v132, 0x3e9e377a, v119
	v_add_f32_e32 v119, v137, v135
	v_fma_f32 v72, -0.5, v119, v72
	v_mov_b32_e32 v136, v72
	v_fmac_f32_e32 v136, 0xbf737871, v111
	v_fmac_f32_e32 v72, 0x3f737871, v111
	;; [unrolled: 1-line block ×4, first 2 shown]
	v_add_f32_e32 v87, v73, v151
	v_add_f32_e32 v87, v87, v153
	v_sub_f32_e32 v119, v152, v137
	v_sub_f32_e32 v131, v154, v135
	v_add_f32_e32 v87, v87, v138
	v_add_f32_e32 v119, v119, v131
	;; [unrolled: 1-line block ×4, first 2 shown]
	v_fma_f32 v133, -0.5, v87, v73
	v_sub_f32_e32 v87, v137, v135
	v_mov_b32_e32 v135, v133
	v_fmac_f32_e32 v136, 0x3e9e377a, v119
	v_fmac_f32_e32 v72, 0x3e9e377a, v119
	;; [unrolled: 1-line block ×3, first 2 shown]
	v_sub_f32_e32 v111, v152, v154
	v_sub_f32_e32 v119, v151, v153
	;; [unrolled: 1-line block ×3, first 2 shown]
	v_fmac_f32_e32 v133, 0x3f737871, v87
	v_fmac_f32_e32 v135, 0xbf167918, v111
	v_add_f32_e32 v119, v119, v137
	v_fmac_f32_e32 v133, 0x3f167918, v111
	v_fmac_f32_e32 v135, 0x3e9e377a, v119
	;; [unrolled: 1-line block ×3, first 2 shown]
	v_add_f32_e32 v119, v151, v139
	ds_write2_b64 v193, v[74:75], v[94:95] offset1:65
	ds_write2_b64 v193, v[97:98], v[80:81] offset0:130 offset1:195
	ds_write2_b64 v112, v[92:93], v[99:100] offset0:4 offset1:69
	;; [unrolled: 1-line block ×4, first 2 shown]
	v_add_u32_e32 v74, 0x1000, v254
	v_fmac_f32_e32 v73, -0.5, v119
	ds_write2_b64 v74, v[107:108], v[113:114] offset0:138 offset1:203
	v_add_u32_e32 v74, 0x1800, v254
	v_mov_b32_e32 v137, v73
	v_sub_f32_e32 v119, v153, v151
	v_sub_f32_e32 v138, v138, v139
	v_fmac_f32_e32 v73, 0xbf737871, v111
	ds_write2_b64 v74, v[115:116], v[76:77] offset0:12 offset1:77
	ds_write_b64 v254, v[109:110] offset:7280
	v_add_u32_e32 v74, 0x1c00, v255
	v_fmac_f32_e32 v137, 0x3f737871, v111
	v_add_f32_e32 v119, v119, v138
	v_fmac_f32_e32 v73, 0x3f167918, v87
	ds_write2_b64 v74, v[117:118], v[126:127] offset0:79 offset1:144
	v_add_u32_e32 v74, 0x2000, v255
	v_fmac_f32_e32 v137, 0xbf167918, v87
	v_fmac_f32_e32 v73, 0x3e9e377a, v119
	ds_write2_b64 v74, v[128:129], v[78:79] offset0:81 offset1:146
	ds_write_b64 v255, v[124:125] offset:9880
	v_add_u32_e32 v74, 0x2800, v0
	v_fmac_f32_e32 v137, 0x3e9e377a, v119
	ds_write2_b64 v74, v[130:131], v[134:135] offset0:20 offset1:85
	ds_write2_b64 v74, v[136:137], v[72:73] offset0:150 offset1:215
	buffer_store_dword v0, off, s[24:27], 0 ; 4-byte Folded Spill
	ds_write_b64 v0, v[132:133] offset:12480
	s_waitcnt vmcnt(0) lgkmcnt(0)
	s_barrier
	global_load_dwordx4 v[84:87], v91, s[4:5] offset:2496
	global_load_dwordx4 v[72:75], v91, s[4:5] offset:2512
	v_lshlrev_b32_e32 v76, 5, v88
	global_load_dwordx4 v[92:95], v76, s[4:5] offset:2496
	s_nop 0
	global_load_dwordx4 v[76:79], v76, s[4:5] offset:2512
	v_lshlrev_b32_e32 v80, 5, v89
	global_load_dwordx4 v[100:103], v80, s[4:5] offset:2496
	s_nop 0
	;; [unrolled: 4-line block ×4, first 2 shown]
	global_load_dwordx4 v[108:111], v108, s[4:5] offset:2496
	v_mov_b32_e32 v113, s15
	v_addc_co_u32_e64 v138, vcc, 0, v113, s[2:3]
	ds_read2_b64 v[134:137], v193 offset1:65
	ds_read2_b64 v[116:119], v112 offset0:4 offset1:69
	ds_read2_b64 v[124:127], v120 offset0:138 offset1:203
	;; [unrolled: 1-line block ×11, first 2 shown]
	ds_read_b64 v[132:133], v193 offset:12480
	s_movk_i32 s3, 0x3000
	s_movk_i32 s2, 0x32c8
	;; [unrolled: 1-line block ×4, first 2 shown]
	s_waitcnt vmcnt(9) lgkmcnt(11)
	v_mul_f32_e32 v159, v119, v85
	v_fma_f32 v159, v118, v84, -v159
	v_mul_f32_e32 v118, v118, v85
	v_fmac_f32_e32 v118, v119, v84
	s_waitcnt lgkmcnt(10)
	v_mul_f32_e32 v119, v125, v87
	v_fma_f32 v119, v124, v86, -v119
	v_mul_f32_e32 v124, v124, v87
	v_fmac_f32_e32 v124, v125, v86
	s_waitcnt vmcnt(8) lgkmcnt(9)
	v_mul_f32_e32 v125, v131, v73
	v_fma_f32 v125, v130, v72, -v125
	v_mul_f32_e32 v130, v130, v73
	v_fmac_f32_e32 v130, v131, v72
	s_waitcnt lgkmcnt(8)
	v_mul_f32_e32 v131, v140, v75
	v_fma_f32 v131, v139, v74, -v131
	v_mul_f32_e32 v191, v139, v75
	s_waitcnt vmcnt(7) lgkmcnt(7)
	v_mul_f32_e32 v139, v144, v93
	v_fma_f32 v192, v143, v92, -v139
	v_mul_f32_e32 v139, v127, v95
	v_fma_f32 v211, v126, v94, -v139
	s_waitcnt vmcnt(6)
	v_mul_f32_e32 v139, v142, v79
	v_fma_f32 v213, v141, v78, -v139
	s_waitcnt vmcnt(5)
	v_mul_f32_e32 v139, v146, v101
	v_fma_f32 v214, v145, v100, -v139
	s_waitcnt lgkmcnt(4)
	v_mul_f32_e32 v139, v152, v103
	v_fma_f32 v216, v151, v102, -v139
	s_waitcnt vmcnt(4)
	v_mul_f32_e32 v139, v150, v81
	v_fma_f32 v218, v149, v80, -v139
	s_waitcnt lgkmcnt(3)
	v_mul_f32_e32 v139, v156, v83
	v_fma_f32 v220, v155, v82, -v139
	s_waitcnt vmcnt(3) lgkmcnt(2)
	v_mul_f32_e32 v139, v208, v105
	v_fma_f32 v222, v207, v104, -v139
	v_mul_f32_e32 v139, v154, v107
	v_fma_f32 v224, v153, v106, -v139
	s_waitcnt vmcnt(2) lgkmcnt(1)
	v_mul_f32_e32 v139, v121, v89
	v_fma_f32 v226, v120, v88, -v139
	v_mul_f32_e32 v227, v120, v89
	v_mul_f32_e32 v120, v158, v91
	v_fma_f32 v228, v157, v90, -v120
	s_waitcnt vmcnt(0)
	v_mul_f32_e32 v120, v210, v109
	v_fma_f32 v230, v209, v108, -v120
	v_mul_f32_e32 v209, v209, v109
	v_mul_f32_e32 v120, v129, v111
	v_fmac_f32_e32 v209, v210, v108
	v_fma_f32 v210, v128, v110, -v120
	v_mul_f32_e32 v120, v123, v97
	v_fma_f32 v232, v122, v96, -v120
	s_waitcnt lgkmcnt(0)
	v_mul_f32_e32 v120, v133, v99
	v_fma_f32 v234, v132, v98, -v120
	v_add_f32_e32 v120, v134, v159
	v_add_f32_e32 v120, v120, v119
	;; [unrolled: 1-line block ×3, first 2 shown]
	v_mul_f32_e32 v141, v141, v79
	v_add_f32_e32 v139, v120, v131
	v_add_f32_e32 v120, v119, v125
	v_fmac_f32_e32 v191, v140, v74
	v_mul_f32_e32 v197, v143, v93
	v_fmac_f32_e32 v141, v142, v78
	v_fma_f32 v142, -0.5, v120, v134
	v_fmac_f32_e32 v197, v144, v92
	v_mul_f32_e32 v233, v122, v97
	v_sub_f32_e32 v120, v118, v191
	v_mov_b32_e32 v144, v142
	v_fmac_f32_e32 v227, v121, v88
	v_fmac_f32_e32 v233, v123, v96
	;; [unrolled: 1-line block ×3, first 2 shown]
	v_sub_f32_e32 v121, v124, v130
	v_sub_f32_e32 v122, v159, v119
	;; [unrolled: 1-line block ×3, first 2 shown]
	v_fmac_f32_e32 v142, 0xbf737871, v120
	v_fmac_f32_e32 v144, 0x3f167918, v121
	v_add_f32_e32 v122, v122, v123
	v_fmac_f32_e32 v142, 0xbf167918, v121
	v_mul_f32_e32 v215, v145, v101
	v_fmac_f32_e32 v144, 0x3e9e377a, v122
	v_fmac_f32_e32 v142, 0x3e9e377a, v122
	v_add_f32_e32 v122, v159, v131
	v_mul_f32_e32 v126, v126, v95
	v_mul_f32_e32 v212, v147, v77
	v_fmac_f32_e32 v215, v146, v100
	v_fma_f32 v146, -0.5, v122, v134
	v_fmac_f32_e32 v126, v127, v94
	v_mul_f32_e32 v127, v148, v77
	v_fmac_f32_e32 v212, v148, v76
	v_mov_b32_e32 v148, v146
	v_fmac_f32_e32 v148, 0xbf737871, v121
	v_fmac_f32_e32 v146, 0x3f737871, v121
	;; [unrolled: 1-line block ×4, first 2 shown]
	v_add_f32_e32 v120, v135, v118
	v_add_f32_e32 v120, v120, v124
	;; [unrolled: 1-line block ×5, first 2 shown]
	v_sub_f32_e32 v122, v119, v159
	v_sub_f32_e32 v123, v125, v131
	v_fma_f32 v143, -0.5, v120, v135
	v_add_f32_e32 v122, v122, v123
	v_sub_f32_e32 v120, v159, v131
	v_mov_b32_e32 v145, v143
	v_fmac_f32_e32 v148, 0x3e9e377a, v122
	v_fmac_f32_e32 v146, 0x3e9e377a, v122
	;; [unrolled: 1-line block ×3, first 2 shown]
	v_sub_f32_e32 v119, v119, v125
	v_sub_f32_e32 v121, v118, v124
	;; [unrolled: 1-line block ×3, first 2 shown]
	v_fmac_f32_e32 v143, 0x3f737871, v120
	v_fmac_f32_e32 v145, 0xbf167918, v119
	v_add_f32_e32 v121, v121, v122
	v_fmac_f32_e32 v143, 0x3f167918, v119
	v_fmac_f32_e32 v145, 0x3e9e377a, v121
	;; [unrolled: 1-line block ×3, first 2 shown]
	v_add_f32_e32 v121, v118, v191
	v_fma_f32 v127, v147, v76, -v127
	v_fma_f32 v147, -0.5, v121, v135
	v_mul_f32_e32 v219, v149, v81
	v_mov_b32_e32 v149, v147
	v_fmac_f32_e32 v149, 0x3f737871, v119
	v_sub_f32_e32 v118, v124, v118
	v_sub_f32_e32 v121, v130, v191
	v_fmac_f32_e32 v147, 0xbf737871, v119
	v_fmac_f32_e32 v149, 0xbf167918, v120
	v_add_f32_e32 v118, v118, v121
	v_fmac_f32_e32 v147, 0x3f167918, v120
	v_fmac_f32_e32 v149, 0x3e9e377a, v118
	;; [unrolled: 1-line block ×3, first 2 shown]
	v_add_f32_e32 v118, v136, v192
	v_add_f32_e32 v118, v118, v211
	;; [unrolled: 1-line block ×3, first 2 shown]
	v_mul_f32_e32 v217, v151, v103
	v_fmac_f32_e32 v219, v150, v80
	v_add_f32_e32 v150, v118, v213
	v_add_f32_e32 v118, v211, v127
	v_fmac_f32_e32 v217, v152, v102
	v_mul_f32_e32 v225, v153, v107
	v_fma_f32 v152, -0.5, v118, v136
	v_fmac_f32_e32 v225, v154, v106
	v_sub_f32_e32 v118, v197, v141
	v_mov_b32_e32 v154, v152
	v_fmac_f32_e32 v154, 0x3f737871, v118
	v_sub_f32_e32 v119, v126, v212
	v_sub_f32_e32 v120, v192, v211
	;; [unrolled: 1-line block ×3, first 2 shown]
	v_fmac_f32_e32 v152, 0xbf737871, v118
	v_fmac_f32_e32 v154, 0x3f167918, v119
	v_add_f32_e32 v120, v120, v121
	v_fmac_f32_e32 v152, 0xbf167918, v119
	v_fmac_f32_e32 v154, 0x3e9e377a, v120
	;; [unrolled: 1-line block ×3, first 2 shown]
	v_add_f32_e32 v120, v192, v213
	v_mul_f32_e32 v221, v155, v83
	v_fma_f32 v136, -0.5, v120, v136
	v_fmac_f32_e32 v221, v156, v82
	v_mov_b32_e32 v156, v136
	v_fmac_f32_e32 v156, 0xbf737871, v119
	v_fmac_f32_e32 v136, 0x3f737871, v119
	;; [unrolled: 1-line block ×4, first 2 shown]
	v_add_f32_e32 v118, v137, v197
	v_add_f32_e32 v118, v118, v126
	;; [unrolled: 1-line block ×5, first 2 shown]
	v_sub_f32_e32 v120, v211, v192
	v_sub_f32_e32 v121, v127, v213
	v_fma_f32 v153, -0.5, v118, v137
	v_add_f32_e32 v120, v120, v121
	v_sub_f32_e32 v118, v192, v213
	v_mov_b32_e32 v155, v153
	v_fmac_f32_e32 v156, 0x3e9e377a, v120
	v_fmac_f32_e32 v136, 0x3e9e377a, v120
	;; [unrolled: 1-line block ×3, first 2 shown]
	v_sub_f32_e32 v119, v211, v127
	v_sub_f32_e32 v120, v197, v126
	;; [unrolled: 1-line block ×3, first 2 shown]
	v_fmac_f32_e32 v153, 0x3f737871, v118
	v_fmac_f32_e32 v155, 0xbf167918, v119
	v_add_f32_e32 v120, v120, v121
	v_fmac_f32_e32 v153, 0x3f167918, v119
	v_fmac_f32_e32 v155, 0x3e9e377a, v120
	;; [unrolled: 1-line block ×3, first 2 shown]
	v_add_f32_e32 v120, v197, v141
	v_fmac_f32_e32 v137, -0.5, v120
	v_mul_f32_e32 v229, v157, v91
	v_mov_b32_e32 v157, v137
	v_fmac_f32_e32 v157, 0x3f737871, v119
	v_fmac_f32_e32 v137, 0xbf737871, v119
	;; [unrolled: 1-line block ×4, first 2 shown]
	v_add_f32_e32 v118, v112, v214
	v_add_f32_e32 v118, v118, v216
	;; [unrolled: 1-line block ×3, first 2 shown]
	v_fmac_f32_e32 v229, v158, v90
	v_add_f32_e32 v158, v118, v220
	v_add_f32_e32 v118, v216, v218
	v_sub_f32_e32 v120, v126, v197
	v_sub_f32_e32 v121, v212, v141
	v_fma_f32 v122, -0.5, v118, v112
	v_add_f32_e32 v120, v120, v121
	v_sub_f32_e32 v118, v215, v221
	v_mov_b32_e32 v191, v122
	v_fmac_f32_e32 v157, 0x3e9e377a, v120
	v_fmac_f32_e32 v137, 0x3e9e377a, v120
	;; [unrolled: 1-line block ×3, first 2 shown]
	v_sub_f32_e32 v119, v217, v219
	v_sub_f32_e32 v120, v214, v216
	;; [unrolled: 1-line block ×3, first 2 shown]
	v_fmac_f32_e32 v122, 0xbf737871, v118
	v_fmac_f32_e32 v191, 0x3f167918, v119
	v_add_f32_e32 v120, v120, v121
	v_fmac_f32_e32 v122, 0xbf167918, v119
	v_fmac_f32_e32 v191, 0x3e9e377a, v120
	;; [unrolled: 1-line block ×3, first 2 shown]
	v_add_f32_e32 v120, v214, v220
	v_fma_f32 v120, -0.5, v120, v112
	v_mul_f32_e32 v223, v207, v105
	v_mov_b32_e32 v207, v120
	v_fmac_f32_e32 v207, 0xbf737871, v119
	v_sub_f32_e32 v112, v216, v214
	v_sub_f32_e32 v121, v218, v220
	v_fmac_f32_e32 v120, 0x3f737871, v119
	v_fmac_f32_e32 v207, 0x3f167918, v118
	v_add_f32_e32 v112, v112, v121
	v_fmac_f32_e32 v120, 0xbf167918, v118
	v_fmac_f32_e32 v207, 0x3e9e377a, v112
	;; [unrolled: 1-line block ×3, first 2 shown]
	v_add_f32_e32 v112, v113, v215
	v_add_f32_e32 v112, v112, v217
	;; [unrolled: 1-line block ×5, first 2 shown]
	v_fma_f32 v123, -0.5, v112, v113
	v_sub_f32_e32 v112, v214, v220
	v_mov_b32_e32 v192, v123
	v_fmac_f32_e32 v192, 0xbf737871, v112
	v_sub_f32_e32 v118, v216, v218
	v_sub_f32_e32 v119, v215, v217
	;; [unrolled: 1-line block ×3, first 2 shown]
	v_fmac_f32_e32 v123, 0x3f737871, v112
	v_fmac_f32_e32 v192, 0xbf167918, v118
	v_add_f32_e32 v119, v119, v121
	v_fmac_f32_e32 v123, 0x3f167918, v118
	v_fmac_f32_e32 v192, 0x3e9e377a, v119
	;; [unrolled: 1-line block ×3, first 2 shown]
	v_add_f32_e32 v119, v215, v221
	v_fma_f32 v121, -0.5, v119, v113
	v_fmac_f32_e32 v223, v208, v104
	v_mov_b32_e32 v208, v121
	v_fmac_f32_e32 v208, 0x3f737871, v118
	v_fmac_f32_e32 v121, 0xbf737871, v118
	;; [unrolled: 1-line block ×4, first 2 shown]
	v_add_f32_e32 v112, v114, v222
	v_add_f32_e32 v112, v112, v224
	;; [unrolled: 1-line block ×3, first 2 shown]
	v_sub_f32_e32 v113, v217, v215
	v_sub_f32_e32 v119, v219, v221
	v_add_f32_e32 v124, v112, v228
	v_add_f32_e32 v112, v224, v226
	v_mul_f32_e32 v231, v128, v111
	v_add_f32_e32 v113, v113, v119
	v_fma_f32 v128, -0.5, v112, v114
	v_fmac_f32_e32 v208, 0x3e9e377a, v113
	v_fmac_f32_e32 v121, 0x3e9e377a, v113
	v_sub_f32_e32 v113, v223, v229
	v_mov_b32_e32 v126, v128
	v_fmac_f32_e32 v126, 0x3f737871, v113
	v_sub_f32_e32 v118, v225, v227
	v_sub_f32_e32 v112, v222, v224
	;; [unrolled: 1-line block ×3, first 2 shown]
	v_fmac_f32_e32 v128, 0xbf737871, v113
	v_fmac_f32_e32 v126, 0x3f167918, v118
	v_add_f32_e32 v112, v112, v119
	v_fmac_f32_e32 v128, 0xbf167918, v118
	v_fmac_f32_e32 v126, 0x3e9e377a, v112
	;; [unrolled: 1-line block ×3, first 2 shown]
	v_add_f32_e32 v112, v222, v228
	v_fma_f32 v114, -0.5, v112, v114
	v_mov_b32_e32 v112, v114
	v_fmac_f32_e32 v112, 0xbf737871, v118
	v_fmac_f32_e32 v114, 0x3f737871, v118
	;; [unrolled: 1-line block ×4, first 2 shown]
	v_add_f32_e32 v113, v115, v223
	v_add_f32_e32 v113, v113, v225
	v_sub_f32_e32 v119, v224, v222
	v_sub_f32_e32 v125, v226, v228
	v_add_f32_e32 v113, v113, v227
	v_add_f32_e32 v119, v119, v125
	;; [unrolled: 1-line block ×4, first 2 shown]
	v_fmac_f32_e32 v231, v129, v110
	v_fma_f32 v129, -0.5, v113, v115
	v_sub_f32_e32 v118, v222, v228
	v_mov_b32_e32 v127, v129
	v_fmac_f32_e32 v112, 0x3e9e377a, v119
	v_fmac_f32_e32 v114, 0x3e9e377a, v119
	;; [unrolled: 1-line block ×3, first 2 shown]
	v_sub_f32_e32 v119, v224, v226
	v_sub_f32_e32 v113, v223, v225
	;; [unrolled: 1-line block ×3, first 2 shown]
	v_fmac_f32_e32 v129, 0x3f737871, v118
	v_fmac_f32_e32 v127, 0xbf167918, v119
	v_add_f32_e32 v113, v113, v130
	v_fmac_f32_e32 v129, 0x3f167918, v119
	v_fmac_f32_e32 v127, 0x3e9e377a, v113
	;; [unrolled: 1-line block ×3, first 2 shown]
	v_add_f32_e32 v113, v223, v229
	v_fmac_f32_e32 v115, -0.5, v113
	v_mov_b32_e32 v113, v115
	v_fmac_f32_e32 v113, 0x3f737871, v119
	v_fmac_f32_e32 v115, 0xbf737871, v119
	;; [unrolled: 1-line block ×4, first 2 shown]
	v_add_f32_e32 v118, v116, v230
	v_sub_f32_e32 v130, v225, v223
	v_sub_f32_e32 v131, v227, v229
	v_add_f32_e32 v118, v118, v210
	v_add_f32_e32 v130, v130, v131
	v_add_f32_e32 v118, v118, v232
	v_mul_f32_e32 v235, v132, v99
	v_fmac_f32_e32 v113, 0x3e9e377a, v130
	v_fmac_f32_e32 v115, 0x3e9e377a, v130
	v_add_f32_e32 v130, v118, v234
	v_add_f32_e32 v118, v210, v232
	v_fmac_f32_e32 v235, v133, v98
	v_fma_f32 v118, -0.5, v118, v116
	v_sub_f32_e32 v119, v209, v235
	v_mov_b32_e32 v132, v118
	v_fmac_f32_e32 v132, 0x3f737871, v119
	v_sub_f32_e32 v131, v231, v233
	v_sub_f32_e32 v133, v230, v210
	;; [unrolled: 1-line block ×3, first 2 shown]
	v_fmac_f32_e32 v118, 0xbf737871, v119
	v_fmac_f32_e32 v132, 0x3f167918, v131
	v_add_f32_e32 v133, v133, v134
	v_fmac_f32_e32 v118, 0xbf167918, v131
	v_fmac_f32_e32 v132, 0x3e9e377a, v133
	;; [unrolled: 1-line block ×3, first 2 shown]
	v_add_f32_e32 v133, v230, v234
	v_fma_f32 v116, -0.5, v133, v116
	v_mov_b32_e32 v134, v116
	v_fmac_f32_e32 v134, 0xbf737871, v131
	v_fmac_f32_e32 v116, 0x3f737871, v131
	;; [unrolled: 1-line block ×4, first 2 shown]
	v_add_f32_e32 v119, v117, v209
	v_add_f32_e32 v119, v119, v231
	;; [unrolled: 1-line block ×3, first 2 shown]
	v_sub_f32_e32 v133, v210, v230
	v_sub_f32_e32 v135, v232, v234
	v_add_f32_e32 v131, v119, v235
	v_add_f32_e32 v119, v231, v233
	;; [unrolled: 1-line block ×3, first 2 shown]
	v_fma_f32 v119, -0.5, v119, v117
	v_fmac_f32_e32 v134, 0x3e9e377a, v133
	v_fmac_f32_e32 v116, 0x3e9e377a, v133
	v_sub_f32_e32 v141, v230, v234
	v_mov_b32_e32 v133, v119
	v_fmac_f32_e32 v133, 0xbf737871, v141
	v_sub_f32_e32 v197, v210, v232
	v_sub_f32_e32 v135, v209, v231
	;; [unrolled: 1-line block ×3, first 2 shown]
	v_fmac_f32_e32 v119, 0x3f737871, v141
	v_fmac_f32_e32 v133, 0xbf167918, v197
	v_add_f32_e32 v135, v135, v210
	v_fmac_f32_e32 v119, 0x3f167918, v197
	v_fmac_f32_e32 v133, 0x3e9e377a, v135
	;; [unrolled: 1-line block ×3, first 2 shown]
	v_add_f32_e32 v135, v209, v235
	v_fmac_f32_e32 v117, -0.5, v135
	v_mov_b32_e32 v135, v117
	ds_write_b64 v193, v[139:140]
	v_add_u32_e32 v140, 0x1c00, v247
	v_fmac_f32_e32 v135, 0x3f737871, v197
	v_sub_f32_e32 v209, v231, v209
	v_sub_f32_e32 v210, v233, v235
	v_fmac_f32_e32 v117, 0xbf737871, v197
	ds_write2_b64 v140, v[146:147], v[136:137] offset0:79 offset1:144
	v_add_co_u32_e32 v136, vcc, s3, v160
	v_fmac_f32_e32 v135, 0xbf167918, v141
	v_add_f32_e32 v209, v209, v210
	v_fmac_f32_e32 v117, 0x3f167918, v141
	v_add_u32_e32 v141, 0x800, v247
	v_add_u32_e32 v139, 0x1000, v247
	;; [unrolled: 1-line block ×3, first 2 shown]
	v_addc_co_u32_e32 v137, vcc, 0, v138, vcc
	v_fmac_f32_e32 v135, 0x3e9e377a, v209
	v_fmac_f32_e32 v117, 0x3e9e377a, v209
	ds_write2_b64 v141, v[144:145], v[154:155] offset0:69 offset1:134
	ds_write2_b64 v139, v[148:149], v[156:157] offset0:138 offset1:203
	ds_write2_b64 v140, v[142:143], v[152:153] offset0:20 offset1:85
	ds_write2_b64 v247, v[150:151], v[158:159] offset0:65 offset1:130
	ds_write_b64 v193, v[191:192] offset:3640
	ds_write_b64 v193, v[207:208] offset:6240
	;; [unrolled: 1-line block ×14, first 2 shown]
	s_waitcnt lgkmcnt(0)
	s_barrier
	global_load_dwordx2 v[146:147], v[136:137], off offset:712
	v_add_co_u32_e32 v136, vcc, s2, v160
	v_addc_co_u32_e32 v137, vcc, 0, v138, vcc
	global_load_dwordx2 v[150:151], v[136:137], off offset:1000
	global_load_dwordx2 v[152:153], v[136:137], off offset:2000
	;; [unrolled: 1-line block ×4, first 2 shown]
	s_movk_i32 s2, 0x4000
	v_add_co_u32_e32 v142, vcc, s2, v160
	v_addc_co_u32_e32 v143, vcc, 0, v138, vcc
	global_load_dwordx2 v[158:159], v[142:143], off offset:1616
	global_load_dwordx2 v[191:192], v[142:143], off offset:2616
	;; [unrolled: 1-line block ×3, first 2 shown]
	s_movk_i32 s2, 0x5000
	v_add_co_u32_e32 v142, vcc, s2, v160
	v_addc_co_u32_e32 v143, vcc, 0, v138, vcc
	global_load_dwordx2 v[209:210], v[142:143], off offset:520
	global_load_dwordx2 v[211:212], v[142:143], off offset:1520
	;; [unrolled: 1-line block ×4, first 2 shown]
	v_add_co_u32_e32 v142, vcc, 0x6000, v160
	v_addc_co_u32_e32 v143, vcc, 0, v138, vcc
	global_load_dwordx2 v[217:218], v[142:143], off offset:424
	ds_read2_b64 v[142:145], v193 offset1:125
	s_waitcnt vmcnt(12) lgkmcnt(0)
	v_mul_f32_e32 v138, v143, v147
	v_fma_f32 v219, v142, v146, -v138
	v_mul_f32_e32 v220, v142, v147
	v_add_u32_e32 v138, 0x400, v193
	v_fmac_f32_e32 v220, v143, v146
	ds_read2_b64 v[146:149], v138 offset0:122 offset1:247
	s_waitcnt vmcnt(11)
	v_mul_f32_e32 v142, v145, v151
	v_mul_f32_e32 v143, v144, v151
	v_fma_f32 v142, v144, v150, -v142
	v_fmac_f32_e32 v143, v145, v150
	ds_write2_b64 v193, v[219:220], v[142:143] offset1:125
	s_waitcnt vmcnt(10) lgkmcnt(1)
	v_mul_f32_e32 v142, v147, v153
	v_fma_f32 v150, v146, v152, -v142
	v_add_u32_e32 v142, 0xc00, v193
	v_mul_f32_e32 v151, v146, v153
	ds_read2_b64 v[143:146], v142 offset0:116 offset1:241
	v_fmac_f32_e32 v151, v147, v152
	s_waitcnt vmcnt(9)
	v_mul_f32_e32 v147, v149, v155
	v_fma_f32 v147, v148, v154, -v147
	v_mul_f32_e32 v148, v148, v155
	v_fmac_f32_e32 v148, v149, v154
	s_waitcnt vmcnt(8) lgkmcnt(0)
	v_mul_f32_e32 v152, v143, v157
	ds_write2_b64 v138, v[150:151], v[147:148] offset0:122 offset1:247
	v_mul_f32_e32 v147, v144, v157
	v_fmac_f32_e32 v152, v144, v156
	v_add_u32_e32 v144, 0x1400, v193
	v_fma_f32 v151, v143, v156, -v147
	s_waitcnt vmcnt(7)
	v_mul_f32_e32 v143, v146, v159
	ds_read2_b64 v[147:150], v144 offset0:110 offset1:235
	v_mul_f32_e32 v154, v145, v159
	v_fma_f32 v153, v145, v158, -v143
	v_fmac_f32_e32 v154, v146, v158
	v_add_u32_e32 v145, 0x1c00, v193
	ds_write2_b64 v142, v[151:152], v[153:154] offset0:116 offset1:241
	ds_read2_b64 v[151:154], v145 offset0:104 offset1:229
	s_waitcnt vmcnt(6) lgkmcnt(2)
	v_mul_f32_e32 v143, v148, v192
	v_fma_f32 v146, v147, v191, -v143
	v_mul_f32_e32 v147, v147, v192
	s_waitcnt vmcnt(5)
	v_mul_f32_e32 v143, v150, v208
	v_fmac_f32_e32 v147, v148, v191
	v_fma_f32 v148, v149, v207, -v143
	v_mul_f32_e32 v149, v149, v208
	s_waitcnt vmcnt(4) lgkmcnt(0)
	v_mul_f32_e32 v143, v152, v210
	v_fmac_f32_e32 v149, v150, v207
	v_fma_f32 v150, v151, v209, -v143
	v_mul_f32_e32 v151, v151, v210
	v_fmac_f32_e32 v151, v152, v209
	v_add_u32_e32 v152, 0x2400, v193
	ds_write2_b64 v144, v[146:147], v[148:149] offset0:110 offset1:235
	ds_read2_b64 v[146:149], v152 offset0:98 offset1:223
	s_waitcnt vmcnt(3)
	v_mul_f32_e32 v143, v154, v212
	v_mul_f32_e32 v156, v153, v212
	v_fma_f32 v155, v153, v211, -v143
	v_fmac_f32_e32 v156, v154, v211
	ds_write2_b64 v145, v[150:151], v[155:156] offset0:104 offset1:229
	s_waitcnt vmcnt(2) lgkmcnt(1)
	v_mul_f32_e32 v143, v147, v214
	v_mul_f32_e32 v151, v146, v214
	v_fma_f32 v150, v146, v213, -v143
	v_fmac_f32_e32 v151, v147, v213
	ds_read_b64 v[146:147], v193 offset:12000
	s_waitcnt vmcnt(1)
	v_mul_f32_e32 v143, v149, v216
	v_mul_f32_e32 v154, v148, v216
	v_fma_f32 v153, v148, v215, -v143
	v_fmac_f32_e32 v154, v149, v215
	s_waitcnt vmcnt(0) lgkmcnt(0)
	v_mul_f32_e32 v143, v147, v218
	v_mul_f32_e32 v149, v146, v218
	v_fma_f32 v148, v146, v217, -v143
	v_fmac_f32_e32 v149, v147, v217
	ds_write2_b64 v152, v[150:151], v[153:154] offset0:98 offset1:223
	ds_write_b64 v193, v[148:149] offset:12000
	s_and_saveexec_b64 s[2:3], s[0:1]
	s_cbranch_execz .LBB0_9
; %bb.8:
	v_add_co_u32_e32 v146, vcc, s5, v136
	global_load_dwordx2 v[150:151], v[136:137], off offset:520
	global_load_dwordx2 v[157:158], v[136:137], off offset:1520
	;; [unrolled: 1-line block ×4, first 2 shown]
	v_addc_co_u32_e32 v147, vcc, 0, v137, vcc
	global_load_dwordx2 v[225:226], v[146:147], off offset:424
	global_load_dwordx2 v[227:228], v[146:147], off offset:1424
	;; [unrolled: 1-line block ×4, first 2 shown]
	v_add_co_u32_e32 v146, vcc, s4, v136
	v_addc_co_u32_e32 v147, vcc, 0, v137, vcc
	global_load_dwordx2 v[233:234], v[146:147], off offset:328
	global_load_dwordx2 v[235:236], v[146:147], off offset:1328
	;; [unrolled: 1-line block ×4, first 2 shown]
	v_add_co_u32_e32 v136, vcc, 0x3000, v136
	v_addc_co_u32_e32 v137, vcc, 0, v137, vcc
	global_load_dwordx2 v[136:137], v[136:137], off offset:232
	ds_read2_b64 v[146:149], v247 offset0:65 offset1:190
	ds_read2_b64 v[153:156], v141 offset0:59 offset1:184
	ds_read2_b64 v[207:210], v139 offset0:53 offset1:178
	v_add_u32_e32 v143, 0x1800, v247
	v_add_u32_e32 v243, 0x2000, v247
	ds_read2_b64 v[211:214], v140 offset0:35 offset1:160
	ds_read2_b64 v[215:218], v143 offset0:47 offset1:172
	;; [unrolled: 1-line block ×3, first 2 shown]
	s_waitcnt vmcnt(12) lgkmcnt(5)
	v_mul_f32_e32 v241, v147, v151
	v_mul_f32_e32 v159, v146, v151
	s_waitcnt vmcnt(11)
	v_mul_f32_e32 v244, v149, v158
	v_mul_f32_e32 v151, v148, v158
	s_waitcnt vmcnt(10) lgkmcnt(4)
	v_mul_f32_e32 v245, v154, v192
	v_mul_f32_e32 v242, v153, v192
	s_waitcnt vmcnt(9)
	v_mul_f32_e32 v246, v156, v224
	v_mul_f32_e32 v192, v155, v224
	v_fma_f32 v158, v146, v150, -v241
	v_fmac_f32_e32 v159, v147, v150
	v_fma_f32 v150, v148, v157, -v244
	v_fmac_f32_e32 v151, v149, v157
	s_waitcnt vmcnt(8) lgkmcnt(3)
	v_mul_f32_e32 v146, v208, v226
	v_mul_f32_e32 v147, v207, v226
	s_waitcnt vmcnt(7)
	v_mul_f32_e32 v148, v210, v228
	v_mul_f32_e32 v149, v209, v228
	v_fma_f32 v241, v153, v191, -v245
	v_fmac_f32_e32 v242, v154, v191
	v_fma_f32 v191, v155, v223, -v246
	v_fmac_f32_e32 v192, v156, v223
	s_waitcnt vmcnt(6) lgkmcnt(1)
	v_mul_f32_e32 v153, v216, v230
	v_mul_f32_e32 v154, v215, v230
	s_waitcnt vmcnt(5)
	v_mul_f32_e32 v155, v218, v232
	v_mul_f32_e32 v156, v217, v232
	s_waitcnt vmcnt(4) lgkmcnt(0)
	v_mul_f32_e32 v157, v220, v234
	v_mul_f32_e32 v224, v219, v234
	s_waitcnt vmcnt(3)
	v_mul_f32_e32 v230, v222, v236
	v_mul_f32_e32 v226, v221, v236
	v_fma_f32 v146, v207, v225, -v146
	v_fmac_f32_e32 v147, v208, v225
	v_fma_f32 v148, v209, v227, -v148
	v_fmac_f32_e32 v149, v210, v227
	ds_write2_b64 v247, v[158:159], v[150:151] offset0:65 offset1:190
	ds_write2_b64 v141, v[241:242], v[191:192] offset0:59 offset1:184
	v_fma_f32 v153, v215, v229, -v153
	v_fmac_f32_e32 v154, v216, v229
	v_fma_f32 v155, v217, v231, -v155
	v_fmac_f32_e32 v156, v218, v231
	;; [unrolled: 2-line block ×4, first 2 shown]
	ds_write2_b64 v139, v[146:147], v[148:149] offset0:53 offset1:178
	ds_write2_b64 v143, v[153:154], v[155:156] offset0:47 offset1:172
	;; [unrolled: 1-line block ×3, first 2 shown]
	ds_read_b64 v[146:147], v247 offset:12520
	s_waitcnt vmcnt(2)
	v_mul_f32_e32 v232, v212, v238
	v_mul_f32_e32 v228, v211, v238
	s_waitcnt vmcnt(1)
	v_mul_f32_e32 v234, v214, v240
	v_mul_f32_e32 v149, v213, v240
	v_fma_f32 v227, v211, v237, -v232
	v_fmac_f32_e32 v228, v212, v237
	v_fma_f32 v148, v213, v239, -v234
	v_fmac_f32_e32 v149, v214, v239
	ds_write2_b64 v140, v[227:228], v[148:149] offset0:35 offset1:160
	s_waitcnt vmcnt(0) lgkmcnt(1)
	v_mul_f32_e32 v139, v147, v137
	v_mul_f32_e32 v140, v146, v137
	v_fma_f32 v139, v146, v136, -v139
	v_fmac_f32_e32 v140, v147, v136
	ds_write_b64 v247, v[139:140] offset:12520
.LBB0_9:
	s_or_b64 exec, exec, s[2:3]
	s_waitcnt lgkmcnt(0)
	s_barrier
	ds_read2_b64 v[156:159], v193 offset1:125
	ds_read2_b64 v[148:151], v138 offset0:122 offset1:247
	ds_read2_b64 v[140:143], v142 offset0:116 offset1:241
	;; [unrolled: 1-line block ×5, first 2 shown]
	ds_read_b64 v[191:192], v193 offset:12000
	s_and_saveexec_b64 s[2:3], s[0:1]
	s_cbranch_execz .LBB0_11
; %bb.10:
	v_add_u32_e32 v116, 0x1800, v247
	v_add_u32_e32 v112, 0x800, v247
	ds_read2_b64 v[128:131], v116 offset0:47 offset1:172
	v_add_u32_e32 v116, 0x2000, v247
	ds_read2_b64 v[124:127], v112 offset0:59 offset1:184
	;; [unrolled: 2-line block ×4, first 2 shown]
	ds_read2_b64 v[112:115], v112 offset0:53 offset1:178
	ds_read2_b64 v[116:119], v116 offset0:35 offset1:160
	ds_read_b64 v[164:165], v247 offset:12520
.LBB0_11:
	s_or_b64 exec, exec, s[2:3]
	s_waitcnt lgkmcnt(6)
	v_add_f32_e32 v210, v156, v158
	v_add_f32_e32 v211, v157, v159
	s_waitcnt lgkmcnt(5)
	v_add_f32_e32 v210, v210, v148
	v_add_f32_e32 v211, v211, v149
	v_add_f32_e32 v210, v210, v150
	v_add_f32_e32 v211, v211, v151
	s_waitcnt lgkmcnt(4)
	v_add_f32_e32 v210, v210, v140
	v_add_f32_e32 v211, v211, v141
	;; [unrolled: 5-line block ×5, first 2 shown]
	v_add_f32_e32 v210, v210, v154
	s_waitcnt lgkmcnt(0)
	v_add_f32_e32 v213, v192, v159
	v_sub_f32_e32 v159, v159, v192
	v_add_f32_e32 v211, v211, v155
	v_add_f32_e32 v210, v210, v191
	;; [unrolled: 1-line block ×3, first 2 shown]
	v_sub_f32_e32 v158, v158, v191
	v_mul_f32_e32 v191, 0xbeedf032, v159
	v_mul_f32_e32 v216, 0xbf52af12, v159
	;; [unrolled: 1-line block ×6, first 2 shown]
	v_add_f32_e32 v211, v211, v192
	s_mov_b32 s4, 0x3f62ad3f
	v_mov_b32_e32 v192, v191
	s_mov_b32 s5, 0x3f116cb1
	v_mov_b32_e32 v217, v216
	;; [unrolled: 2-line block ×6, first 2 shown]
	v_fmac_f32_e32 v192, 0x3f62ad3f, v212
	v_mul_f32_e32 v214, 0x3f62ad3f, v213
	v_fma_f32 v191, v212, s4, -v191
	v_fmac_f32_e32 v217, 0x3f116cb1, v212
	v_mul_f32_e32 v218, 0x3f116cb1, v213
	v_fma_f32 v216, v212, s5, -v216
	;; [unrolled: 3-line block ×6, first 2 shown]
	v_add_f32_e32 v192, v156, v192
	v_mov_b32_e32 v215, v214
	v_add_f32_e32 v191, v156, v191
	v_add_f32_e32 v217, v156, v217
	v_mov_b32_e32 v219, v218
	v_add_f32_e32 v216, v156, v216
	;; [unrolled: 3-line block ×6, first 2 shown]
	v_add_f32_e32 v159, v155, v149
	v_sub_f32_e32 v149, v149, v155
	v_fmac_f32_e32 v215, 0x3eedf032, v158
	v_fmac_f32_e32 v214, 0xbeedf032, v158
	;; [unrolled: 1-line block ×12, first 2 shown]
	v_add_f32_e32 v158, v154, v148
	v_sub_f32_e32 v148, v148, v154
	v_mul_f32_e32 v154, 0xbf52af12, v149
	v_mov_b32_e32 v155, v154
	v_fmac_f32_e32 v155, 0x3f116cb1, v158
	v_add_f32_e32 v155, v155, v192
	v_mul_f32_e32 v192, 0x3f116cb1, v159
	v_add_f32_e32 v214, v157, v214
	v_mov_b32_e32 v212, v192
	v_fma_f32 v154, v158, s5, -v154
	v_fmac_f32_e32 v192, 0xbf52af12, v148
	v_add_f32_e32 v154, v154, v191
	v_add_f32_e32 v191, v192, v214
	v_mul_f32_e32 v192, 0xbf6f5d39, v149
	v_add_f32_e32 v215, v157, v215
	v_add_f32_e32 v219, v157, v219
	;; [unrolled: 1-line block ×11, first 2 shown]
	v_mov_b32_e32 v213, v192
	v_fma_f32 v192, v158, s13, -v192
	v_fmac_f32_e32 v212, 0x3f52af12, v148
	v_fmac_f32_e32 v213, 0xbeb58ec6, v158
	v_mul_f32_e32 v214, 0xbeb58ec6, v159
	v_add_f32_e32 v192, v192, v216
	v_mul_f32_e32 v216, 0xbe750f2a, v149
	v_add_f32_e32 v212, v212, v215
	v_add_f32_e32 v213, v213, v217
	v_mov_b32_e32 v215, v214
	v_fmac_f32_e32 v214, 0xbf6f5d39, v148
	v_mov_b32_e32 v217, v216
	v_fma_f32 v216, v158, s15, -v216
	v_fmac_f32_e32 v215, 0x3f6f5d39, v148
	v_add_f32_e32 v214, v214, v218
	v_fmac_f32_e32 v217, 0xbf788fa5, v158
	v_mul_f32_e32 v218, 0xbf788fa5, v159
	v_add_f32_e32 v216, v216, v220
	v_mul_f32_e32 v220, 0x3f29c268, v149
	v_add_f32_e32 v215, v215, v219
	v_add_f32_e32 v217, v217, v221
	v_mov_b32_e32 v219, v218
	v_fmac_f32_e32 v218, 0xbe750f2a, v148
	v_mov_b32_e32 v221, v220
	v_fma_f32 v220, v158, s14, -v220
	v_fmac_f32_e32 v219, 0x3e750f2a, v148
	v_add_f32_e32 v218, v218, v222
	v_fmac_f32_e32 v221, 0xbf3f9e67, v158
	v_mul_f32_e32 v222, 0xbf3f9e67, v159
	v_add_f32_e32 v220, v220, v224
	v_mul_f32_e32 v224, 0x3f7e222b, v149
	v_add_f32_e32 v219, v219, v223
	v_add_f32_e32 v221, v221, v225
	v_mov_b32_e32 v223, v222
	v_fmac_f32_e32 v222, 0x3f29c268, v148
	v_mov_b32_e32 v225, v224
	v_fmac_f32_e32 v223, 0xbf29c268, v148
	v_add_f32_e32 v222, v222, v226
	v_fmac_f32_e32 v225, 0x3df6dbef, v158
	v_mul_f32_e32 v226, 0x3df6dbef, v159
	v_mul_f32_e32 v159, 0x3f62ad3f, v159
	v_add_f32_e32 v223, v223, v227
	v_add_f32_e32 v225, v225, v229
	v_mov_b32_e32 v227, v226
	v_fma_f32 v224, v158, s12, -v224
	v_mul_f32_e32 v149, 0x3eedf032, v149
	v_mov_b32_e32 v229, v159
	v_fmac_f32_e32 v159, 0x3eedf032, v148
	v_fmac_f32_e32 v227, 0xbf7e222b, v148
	v_add_f32_e32 v224, v224, v228
	v_fmac_f32_e32 v226, 0x3f7e222b, v148
	v_mov_b32_e32 v228, v149
	v_fmac_f32_e32 v229, 0xbeedf032, v148
	v_fma_f32 v149, v158, s4, -v149
	v_add_f32_e32 v148, v159, v157
	v_add_f32_e32 v157, v153, v151
	v_sub_f32_e32 v151, v151, v153
	v_add_f32_e32 v149, v149, v156
	v_add_f32_e32 v156, v152, v150
	v_sub_f32_e32 v150, v150, v152
	v_mul_f32_e32 v152, 0xbf7e222b, v151
	v_mov_b32_e32 v153, v152
	v_fmac_f32_e32 v153, 0x3df6dbef, v156
	v_add_f32_e32 v153, v153, v155
	v_mul_f32_e32 v155, 0x3df6dbef, v157
	v_fmac_f32_e32 v228, 0x3f62ad3f, v158
	v_mov_b32_e32 v158, v155
	v_fma_f32 v152, v156, s12, -v152
	v_fmac_f32_e32 v155, 0xbf7e222b, v150
	v_add_f32_e32 v152, v152, v154
	v_add_f32_e32 v154, v155, v191
	v_mul_f32_e32 v155, 0xbe750f2a, v151
	v_mov_b32_e32 v159, v155
	v_fma_f32 v155, v156, s15, -v155
	v_fmac_f32_e32 v158, 0x3f7e222b, v150
	v_fmac_f32_e32 v159, 0xbf788fa5, v156
	v_mul_f32_e32 v191, 0xbf788fa5, v157
	v_add_f32_e32 v155, v155, v192
	v_mul_f32_e32 v192, 0x3f6f5d39, v151
	v_add_f32_e32 v158, v158, v212
	v_add_f32_e32 v159, v159, v213
	v_mov_b32_e32 v212, v191
	v_fmac_f32_e32 v191, 0xbe750f2a, v150
	v_mov_b32_e32 v213, v192
	v_fma_f32 v192, v156, s13, -v192
	v_fmac_f32_e32 v212, 0x3e750f2a, v150
	v_add_f32_e32 v191, v191, v214
	v_fmac_f32_e32 v213, 0xbeb58ec6, v156
	v_mul_f32_e32 v214, 0xbeb58ec6, v157
	v_add_f32_e32 v192, v192, v216
	v_mul_f32_e32 v216, 0x3eedf032, v151
	v_add_f32_e32 v212, v212, v215
	v_add_f32_e32 v213, v213, v217
	v_mov_b32_e32 v215, v214
	v_fmac_f32_e32 v214, 0x3f6f5d39, v150
	v_mov_b32_e32 v217, v216
	v_fma_f32 v216, v156, s4, -v216
	v_fmac_f32_e32 v215, 0xbf6f5d39, v150
	v_add_f32_e32 v214, v214, v218
	v_fmac_f32_e32 v217, 0x3f62ad3f, v156
	v_mul_f32_e32 v218, 0x3f62ad3f, v157
	v_add_f32_e32 v216, v216, v220
	v_mul_f32_e32 v220, 0xbf52af12, v151
	v_add_f32_e32 v215, v215, v219
	v_add_f32_e32 v217, v217, v221
	v_mov_b32_e32 v219, v218
	v_fmac_f32_e32 v218, 0x3eedf032, v150
	v_mov_b32_e32 v221, v220
	v_fma_f32 v220, v156, s5, -v220
	v_mul_f32_e32 v151, 0xbf29c268, v151
	v_fmac_f32_e32 v219, 0xbeedf032, v150
	v_add_f32_e32 v218, v218, v222
	v_fmac_f32_e32 v221, 0x3f116cb1, v156
	v_mul_f32_e32 v222, 0x3f116cb1, v157
	v_add_f32_e32 v220, v220, v224
	v_mov_b32_e32 v224, v151
	v_mul_f32_e32 v157, 0xbf3f9e67, v157
	v_fma_f32 v151, v156, s14, -v151
	v_add_f32_e32 v219, v219, v223
	v_add_f32_e32 v221, v221, v225
	v_mov_b32_e32 v223, v222
	v_mov_b32_e32 v225, v157
	v_add_f32_e32 v149, v151, v149
	v_add_f32_e32 v151, v147, v141
	v_sub_f32_e32 v141, v141, v147
	v_fmac_f32_e32 v223, 0x3f52af12, v150
	v_fmac_f32_e32 v222, 0xbf52af12, v150
	;; [unrolled: 1-line block ×4, first 2 shown]
	v_add_f32_e32 v150, v146, v140
	v_sub_f32_e32 v140, v140, v146
	v_mul_f32_e32 v146, 0xbf6f5d39, v141
	v_mov_b32_e32 v147, v146
	v_fmac_f32_e32 v147, 0xbeb58ec6, v150
	v_add_f32_e32 v147, v147, v153
	v_mul_f32_e32 v153, 0xbeb58ec6, v151
	v_fmac_f32_e32 v224, 0xbf3f9e67, v156
	v_mov_b32_e32 v156, v153
	v_fma_f32 v146, v150, s13, -v146
	v_fmac_f32_e32 v153, 0xbf6f5d39, v140
	v_add_f32_e32 v148, v157, v148
	v_fmac_f32_e32 v156, 0x3f6f5d39, v140
	v_add_f32_e32 v146, v146, v152
	v_add_f32_e32 v152, v153, v154
	v_mul_f32_e32 v153, 0x3f29c268, v141
	v_mul_f32_e32 v157, 0xbf3f9e67, v151
	v_add_f32_e32 v156, v156, v158
	v_mov_b32_e32 v154, v153
	v_mov_b32_e32 v158, v157
	v_fma_f32 v153, v150, s14, -v153
	v_fmac_f32_e32 v157, 0x3f29c268, v140
	v_fmac_f32_e32 v154, 0xbf3f9e67, v150
	v_add_f32_e32 v153, v153, v155
	v_add_f32_e32 v155, v157, v191
	v_mul_f32_e32 v157, 0x3eedf032, v141
	v_add_f32_e32 v154, v154, v159
	v_mov_b32_e32 v159, v157
	v_fma_f32 v157, v150, s4, -v157
	v_fmac_f32_e32 v158, 0xbf29c268, v140
	v_fmac_f32_e32 v159, 0x3f62ad3f, v150
	v_mul_f32_e32 v191, 0x3f62ad3f, v151
	v_add_f32_e32 v157, v157, v192
	v_mul_f32_e32 v192, 0xbf7e222b, v141
	v_add_f32_e32 v158, v158, v212
	v_add_f32_e32 v159, v159, v213
	v_mov_b32_e32 v212, v191
	v_fmac_f32_e32 v191, 0x3eedf032, v140
	v_mov_b32_e32 v213, v192
	v_fma_f32 v192, v150, s12, -v192
	v_fmac_f32_e32 v212, 0xbeedf032, v140
	v_add_f32_e32 v191, v191, v214
	v_fmac_f32_e32 v213, 0x3df6dbef, v150
	v_mul_f32_e32 v214, 0x3df6dbef, v151
	v_add_f32_e32 v192, v192, v216
	v_mul_f32_e32 v216, 0x3e750f2a, v141
	v_add_f32_e32 v212, v212, v215
	v_add_f32_e32 v213, v213, v217
	v_mov_b32_e32 v215, v214
	v_fmac_f32_e32 v214, 0xbf7e222b, v140
	v_mov_b32_e32 v217, v216
	v_fma_f32 v216, v150, s15, -v216
	v_mul_f32_e32 v141, 0x3f52af12, v141
	v_fmac_f32_e32 v215, 0x3f7e222b, v140
	v_add_f32_e32 v214, v214, v218
	v_fmac_f32_e32 v217, 0xbf788fa5, v150
	v_mul_f32_e32 v218, 0xbf788fa5, v151
	v_add_f32_e32 v216, v216, v220
	v_mov_b32_e32 v220, v141
	v_mul_f32_e32 v151, 0x3f116cb1, v151
	v_fma_f32 v141, v150, s5, -v141
	v_add_f32_e32 v215, v215, v219
	v_add_f32_e32 v217, v217, v221
	v_mov_b32_e32 v219, v218
	v_mov_b32_e32 v221, v151
	v_add_f32_e32 v141, v141, v149
	v_fmac_f32_e32 v151, 0x3f52af12, v140
	v_add_f32_e32 v149, v145, v143
	v_sub_f32_e32 v143, v143, v145
	v_fmac_f32_e32 v219, 0xbe750f2a, v140
	v_fmac_f32_e32 v218, 0x3e750f2a, v140
	;; [unrolled: 1-line block ×3, first 2 shown]
	v_add_f32_e32 v140, v151, v148
	v_add_f32_e32 v148, v144, v142
	v_sub_f32_e32 v142, v142, v144
	v_mul_f32_e32 v144, 0xbf29c268, v143
	v_mov_b32_e32 v145, v144
	v_fmac_f32_e32 v145, 0xbf3f9e67, v148
	v_add_f32_e32 v145, v145, v147
	v_mul_f32_e32 v147, 0xbf3f9e67, v149
	v_fmac_f32_e32 v220, 0x3f116cb1, v150
	v_mov_b32_e32 v150, v147
	v_fma_f32 v144, v148, s14, -v144
	v_fmac_f32_e32 v147, 0xbf29c268, v142
	v_add_f32_e32 v144, v144, v146
	v_add_f32_e32 v146, v147, v152
	v_mul_f32_e32 v147, 0x3f7e222b, v143
	v_mov_b32_e32 v151, v147
	v_fmac_f32_e32 v151, 0x3df6dbef, v148
	v_mul_f32_e32 v152, 0x3df6dbef, v149
	v_fma_f32 v147, v148, s12, -v147
	v_add_f32_e32 v151, v151, v154
	v_mov_b32_e32 v154, v152
	v_add_f32_e32 v147, v147, v153
	v_fmac_f32_e32 v152, 0x3f7e222b, v142
	v_mul_f32_e32 v153, 0xbf52af12, v143
	v_fmac_f32_e32 v150, 0x3f29c268, v142
	v_add_f32_e32 v152, v152, v155
	v_mov_b32_e32 v155, v153
	v_fma_f32 v153, v148, s5, -v153
	v_add_f32_e32 v150, v150, v156
	v_fmac_f32_e32 v154, 0xbf7e222b, v142
	v_fmac_f32_e32 v155, 0x3f116cb1, v148
	v_mul_f32_e32 v156, 0x3f116cb1, v149
	v_add_f32_e32 v153, v153, v157
	v_mul_f32_e32 v157, 0x3e750f2a, v143
	v_add_f32_e32 v154, v154, v158
	v_add_f32_e32 v155, v155, v159
	v_mov_b32_e32 v158, v156
	v_fmac_f32_e32 v156, 0xbf52af12, v142
	v_mov_b32_e32 v159, v157
	v_fma_f32 v157, v148, s15, -v157
	v_fmac_f32_e32 v158, 0x3f52af12, v142
	v_add_f32_e32 v156, v156, v191
	v_fmac_f32_e32 v159, 0xbf788fa5, v148
	v_mul_f32_e32 v191, 0xbf788fa5, v149
	v_add_f32_e32 v157, v157, v192
	v_mul_f32_e32 v192, 0x3eedf032, v143
	v_add_f32_e32 v158, v158, v212
	v_add_f32_e32 v159, v159, v213
	v_mov_b32_e32 v212, v191
	v_fmac_f32_e32 v191, 0x3e750f2a, v142
	v_mov_b32_e32 v213, v192
	v_add_f32_e32 v229, v229, v233
	v_add_f32_e32 v191, v191, v214
	v_fmac_f32_e32 v213, 0x3f62ad3f, v148
	v_mul_f32_e32 v214, 0x3f62ad3f, v149
	v_mul_f32_e32 v149, 0xbeb58ec6, v149
	v_add_f32_e32 v225, v225, v229
	v_add_f32_e32 v213, v213, v217
	v_mov_b32_e32 v217, v149
	v_add_f32_e32 v227, v227, v231
	v_add_f32_e32 v228, v228, v232
	;; [unrolled: 1-line block ×3, first 2 shown]
	v_fma_f32 v192, v148, s4, -v192
	v_mul_f32_e32 v143, 0xbf6f5d39, v143
	v_fmac_f32_e32 v217, 0x3f6f5d39, v142
	v_add_f32_e32 v226, v226, v230
	v_add_f32_e32 v223, v223, v227
	;; [unrolled: 1-line block ×3, first 2 shown]
	v_fmac_f32_e32 v212, 0xbe750f2a, v142
	v_add_f32_e32 v192, v192, v216
	v_mov_b32_e32 v216, v143
	v_add_f32_e32 v217, v217, v221
	v_add_f32_e32 v221, v139, v137
	;; [unrolled: 1-line block ×6, first 2 shown]
	v_mov_b32_e32 v215, v214
	v_fmac_f32_e32 v216, 0xbeb58ec6, v148
	v_sub_f32_e32 v223, v137, v139
	v_mul_f32_e32 v139, 0xbf788fa5, v221
	v_add_f32_e32 v218, v218, v222
	v_fmac_f32_e32 v215, 0xbeedf032, v142
	v_fmac_f32_e32 v214, 0x3eedf032, v142
	v_add_f32_e32 v216, v216, v220
	v_fmac_f32_e32 v149, 0xbf6f5d39, v142
	v_add_f32_e32 v220, v138, v136
	v_sub_f32_e32 v222, v136, v138
	v_mul_f32_e32 v138, 0xbe750f2a, v223
	v_mov_b32_e32 v137, v139
	v_mul_f32_e32 v142, 0x3eedf032, v223
	v_add_f32_e32 v215, v215, v219
	v_fma_f32 v143, v148, s13, -v143
	v_add_f32_e32 v219, v149, v140
	v_mov_b32_e32 v136, v138
	v_fmac_f32_e32 v137, 0x3e750f2a, v222
	v_fmac_f32_e32 v139, 0xbe750f2a, v222
	v_mov_b32_e32 v140, v142
	v_fma_f32 v142, v220, s4, -v142
	v_add_f32_e32 v214, v214, v218
	v_add_f32_e32 v218, v143, v141
	v_fmac_f32_e32 v136, 0xbf788fa5, v220
	v_add_f32_e32 v137, v137, v150
	v_fma_f32 v138, v220, s15, -v138
	v_add_f32_e32 v139, v139, v146
	v_mul_f32_e32 v143, 0x3f62ad3f, v221
	v_add_f32_e32 v142, v142, v147
	v_mul_f32_e32 v146, 0xbf29c268, v223
	v_mul_f32_e32 v147, 0xbf3f9e67, v221
	;; [unrolled: 1-line block ×3, first 2 shown]
	v_add_f32_e32 v136, v136, v145
	v_add_f32_e32 v138, v138, v144
	v_mov_b32_e32 v141, v143
	v_mov_b32_e32 v144, v146
	;; [unrolled: 1-line block ×4, first 2 shown]
	v_fmac_f32_e32 v140, 0x3f62ad3f, v220
	v_fmac_f32_e32 v141, 0xbeedf032, v222
	;; [unrolled: 1-line block ×5, first 2 shown]
	v_add_f32_e32 v140, v140, v151
	v_add_f32_e32 v141, v141, v154
	v_fmac_f32_e32 v143, 0x3eedf032, v222
	v_add_f32_e32 v144, v144, v155
	v_add_f32_e32 v145, v145, v158
	v_fma_f32 v146, v220, s14, -v146
	v_fmac_f32_e32 v147, 0xbf29c268, v222
	v_add_f32_e32 v148, v148, v159
	v_mul_f32_e32 v151, 0x3f116cb1, v221
	v_fma_f32 v150, v220, s5, -v150
	v_mul_f32_e32 v154, 0xbf6f5d39, v223
	v_mul_f32_e32 v155, 0xbeb58ec6, v221
	;; [unrolled: 1-line block ×4, first 2 shown]
	v_add_f32_e32 v143, v143, v152
	v_add_f32_e32 v146, v146, v153
	;; [unrolled: 1-line block ×3, first 2 shown]
	v_mov_b32_e32 v149, v151
	v_add_f32_e32 v150, v150, v157
	v_mov_b32_e32 v152, v154
	v_mov_b32_e32 v153, v155
	;; [unrolled: 1-line block ×4, first 2 shown]
	v_add_u32_e32 v208, 0x410, v193
	v_add_u32_e32 v207, 0x618, v193
	;; [unrolled: 1-line block ×3, first 2 shown]
	v_fmac_f32_e32 v149, 0xbf52af12, v222
	v_fmac_f32_e32 v151, 0x3f52af12, v222
	;; [unrolled: 1-line block ×4, first 2 shown]
	v_fma_f32 v154, v220, s13, -v154
	v_fmac_f32_e32 v155, 0xbf6f5d39, v222
	v_fmac_f32_e32 v156, 0x3df6dbef, v220
	;; [unrolled: 1-line block ×3, first 2 shown]
	v_fma_f32 v158, v220, s12, -v158
	v_fmac_f32_e32 v159, 0x3f7e222b, v222
	v_add_f32_e32 v149, v149, v212
	v_add_f32_e32 v151, v151, v191
	;; [unrolled: 1-line block ×10, first 2 shown]
	s_barrier
	ds_write2_b64 v198, v[210:211], v[136:137] offset1:1
	ds_write2_b64 v198, v[140:141], v[144:145] offset0:2 offset1:3
	ds_write2_b64 v198, v[148:149], v[152:153] offset0:4 offset1:5
	;; [unrolled: 1-line block ×5, first 2 shown]
	ds_write_b64 v198, v[138:139] offset:96
	s_and_saveexec_b64 s[2:3], s[0:1]
	s_cbranch_execz .LBB0_13
; %bb.12:
	v_add_f32_e32 v146, v165, v123
	v_mul_f32_e32 v148, 0xbf788fa5, v146
	v_add_f32_e32 v147, v119, v125
	v_sub_f32_e32 v149, v122, v164
	v_mov_b32_e32 v136, v148
	v_mul_f32_e32 v150, 0x3f62ad3f, v147
	v_fmac_f32_e32 v136, 0x3e750f2a, v149
	v_sub_f32_e32 v151, v124, v118
	v_mov_b32_e32 v137, v150
	v_add_f32_e32 v152, v117, v127
	v_add_f32_e32 v136, v121, v136
	v_fmac_f32_e32 v137, 0xbeedf032, v151
	v_mul_f32_e32 v153, 0xbf3f9e67, v152
	v_add_f32_e32 v136, v137, v136
	v_sub_f32_e32 v154, v126, v116
	v_mov_b32_e32 v137, v153
	v_add_f32_e32 v155, v135, v113
	v_fmac_f32_e32 v137, 0x3f29c268, v154
	v_mul_f32_e32 v156, 0x3f116cb1, v155
	v_add_f32_e32 v136, v137, v136
	v_sub_f32_e32 v157, v112, v134
	v_mov_b32_e32 v137, v156
	;; [unrolled: 6-line block ×4, first 2 shown]
	v_fmac_f32_e32 v137, 0xbf7e222b, v210
	v_sub_f32_e32 v212, v123, v165
	v_add_f32_e32 v1, v137, v136
	v_add_f32_e32 v211, v164, v122
	v_mul_f32_e32 v136, 0xbe750f2a, v212
	v_sub_f32_e32 v215, v125, v119
	buffer_store_dword v136, off, s[24:27], 0 offset:60 ; 4-byte Folded Spill
	v_fmac_f32_e32 v136, 0xbf788fa5, v211
	v_add_f32_e32 v214, v118, v124
	v_mul_f32_e32 v138, 0x3eedf032, v215
	v_add_f32_e32 v136, v120, v136
	buffer_store_dword v138, off, s[24:27], 0 offset:64 ; 4-byte Folded Spill
	v_fmac_f32_e32 v138, 0x3f62ad3f, v214
	v_sub_f32_e32 v218, v127, v117
	v_add_f32_e32 v136, v138, v136
	v_add_f32_e32 v217, v116, v126
	v_mul_f32_e32 v138, 0xbf29c268, v218
	buffer_store_dword v138, off, s[24:27], 0 offset:68 ; 4-byte Folded Spill
	v_fmac_f32_e32 v138, 0xbf3f9e67, v217
	v_sub_f32_e32 v221, v113, v135
	v_add_f32_e32 v136, v138, v136
	v_add_f32_e32 v220, v134, v112
	v_mul_f32_e32 v138, 0x3f52af12, v221
	v_sub_f32_e32 v224, v115, v133
	buffer_store_dword v138, off, s[24:27], 0 offset:72 ; 4-byte Folded Spill
	v_fmac_f32_e32 v138, 0x3f116cb1, v220
	v_mul_f32_e32 v225, 0xbf6f5d39, v224
	v_add_f32_e32 v136, v138, v136
	v_add_f32_e32 v223, v132, v114
	v_mov_b32_e32 v138, v225
	v_sub_f32_e32 v227, v129, v131
	v_fmac_f32_e32 v138, 0xbeb58ec6, v223
	v_mul_f32_e32 v228, 0x3f7e222b, v227
	v_add_f32_e32 v136, v138, v136
	v_add_f32_e32 v226, v130, v128
	v_mov_b32_e32 v138, v228
	v_fmac_f32_e32 v138, 0x3df6dbef, v226
	v_mul_f32_e32 v229, 0xbf3f9e67, v146
	v_add_f32_e32 v0, v138, v136
	v_mov_b32_e32 v138, v229
	v_mul_f32_e32 v230, 0x3df6dbef, v147
	v_fmac_f32_e32 v138, 0x3f29c268, v149
	v_mov_b32_e32 v139, v230
	v_add_f32_e32 v138, v121, v138
	v_fmac_f32_e32 v139, 0xbf7e222b, v151
	v_mul_f32_e32 v231, 0x3f116cb1, v152
	v_add_f32_e32 v138, v139, v138
	v_mov_b32_e32 v139, v231
	v_fmac_f32_e32 v139, 0x3f52af12, v154
	v_mul_f32_e32 v232, 0xbf788fa5, v155
	v_add_f32_e32 v138, v139, v138
	v_mov_b32_e32 v139, v232
	;; [unrolled: 4-line block ×4, first 2 shown]
	buffer_store_dword v0, off, s[24:27], 0 offset:36 ; 4-byte Folded Spill
	s_nop 0
	buffer_store_dword v1, off, s[24:27], 0 offset:40 ; 4-byte Folded Spill
	v_fmac_f32_e32 v139, 0x3f6f5d39, v210
	v_mul_f32_e32 v219, 0xbf29c268, v212
	v_add_f32_e32 v1, v139, v138
	v_mov_b32_e32 v138, v219
	v_mul_f32_e32 v213, 0x3f7e222b, v215
	v_fmac_f32_e32 v138, 0xbf3f9e67, v211
	v_mov_b32_e32 v140, v213
	v_add_f32_e32 v138, v120, v138
	v_fmac_f32_e32 v140, 0x3df6dbef, v214
	v_mul_f32_e32 v237, 0xbf52af12, v218
	v_add_f32_e32 v138, v140, v138
	v_mov_b32_e32 v140, v237
	v_fmac_f32_e32 v140, 0x3f116cb1, v217
	v_mul_f32_e32 v238, 0x3e750f2a, v221
	v_add_f32_e32 v138, v140, v138
	v_mov_b32_e32 v140, v238
	;; [unrolled: 4-line block ×5, first 2 shown]
	v_mul_f32_e32 v242, 0xbf3f9e67, v147
	v_fmac_f32_e32 v140, 0x3f6f5d39, v149
	v_mov_b32_e32 v141, v242
	v_add_f32_e32 v140, v121, v140
	v_fmac_f32_e32 v141, 0xbf29c268, v151
	v_mul_f32_e32 v243, 0x3f62ad3f, v152
	v_add_f32_e32 v140, v141, v140
	v_mov_b32_e32 v141, v243
	v_fmac_f32_e32 v141, 0xbeedf032, v154
	v_mul_f32_e32 v244, 0x3df6dbef, v155
	v_add_f32_e32 v140, v141, v140
	v_mov_b32_e32 v141, v244
	v_fmac_f32_e32 v141, 0x3f7e222b, v157
	v_mul_f32_e32 v245, 0xbf788fa5, v158
	v_add_f32_e32 v140, v141, v140
	v_mov_b32_e32 v141, v245
	v_fmac_f32_e32 v141, 0xbe750f2a, v191
	v_mul_f32_e32 v246, 0x3f116cb1, v192
	v_add_f32_e32 v140, v141, v140
	v_mov_b32_e32 v141, v246
	buffer_store_dword v0, off, s[24:27], 0 offset:44 ; 4-byte Folded Spill
	s_nop 0
	buffer_store_dword v1, off, s[24:27], 0 offset:48 ; 4-byte Folded Spill
	v_fmac_f32_e32 v141, 0xbf52af12, v210
	v_mul_f32_e32 v222, 0xbf6f5d39, v212
	v_add_f32_e32 v123, v123, v121
	v_add_f32_e32 v1, v141, v140
	v_mov_b32_e32 v140, v222
	v_mul_f32_e32 v2, 0x3f29c268, v215
	v_add_f32_e32 v123, v125, v123
	v_fmac_f32_e32 v140, 0xbeb58ec6, v211
	v_mov_b32_e32 v142, v2
	v_add_f32_e32 v123, v127, v123
	v_add_f32_e32 v140, v120, v140
	v_fmac_f32_e32 v142, 0xbf3f9e67, v214
	v_mul_f32_e32 v3, 0x3eedf032, v218
	v_add_f32_e32 v113, v113, v123
	v_add_f32_e32 v140, v142, v140
	v_mov_b32_e32 v142, v3
	v_add_f32_e32 v113, v115, v113
	v_add_f32_e32 v115, v122, v120
	v_fmac_f32_e32 v142, 0x3f62ad3f, v217
	v_mul_f32_e32 v195, 0xbf7e222b, v221
	v_add_f32_e32 v115, v124, v115
	v_add_f32_e32 v140, v142, v140
	v_mov_b32_e32 v142, v195
	v_add_f32_e32 v115, v126, v115
	v_fmac_f32_e32 v142, 0x3df6dbef, v220
	v_mul_f32_e32 v216, 0x3e750f2a, v224
	v_add_f32_e32 v112, v112, v115
	v_add_f32_e32 v140, v142, v140
	v_mov_b32_e32 v142, v216
	v_add_f32_e32 v112, v114, v112
	v_fmac_f32_e32 v142, 0xbf788fa5, v223
	buffer_store_dword v252, off, s[24:27], 0 offset:20 ; 4-byte Folded Spill
	v_mul_f32_e32 v252, 0x3f52af12, v227
	v_add_f32_e32 v112, v128, v112
	v_add_f32_e32 v140, v142, v140
	v_mov_b32_e32 v142, v252
	v_add_f32_e32 v112, v130, v112
	v_fmac_f32_e32 v142, 0x3f116cb1, v226
	v_add_f32_e32 v112, v132, v112
	v_add_f32_e32 v0, v142, v140
	;; [unrolled: 1-line block ×3, first 2 shown]
	buffer_store_dword v0, off, s[24:27], 0 offset:52 ; 4-byte Folded Spill
	s_nop 0
	buffer_store_dword v1, off, s[24:27], 0 offset:56 ; 4-byte Folded Spill
	buffer_store_dword v253, off, s[24:27], 0 offset:24 ; 4-byte Folded Spill
	v_add_f32_e32 v112, v116, v112
	v_mov_b32_e32 v0, v164
	v_add_f32_e32 v112, v118, v112
	v_add_f32_e32 v112, v0, v112
	buffer_load_dword v0, off, s[24:27], 0 offset:60 ; 4-byte Folded Reload
	v_fmac_f32_e32 v148, 0xbe750f2a, v149
	v_add_f32_e32 v114, v121, v148
	v_fmac_f32_e32 v150, 0x3eedf032, v151
	v_add_f32_e32 v114, v150, v114
	;; [unrolled: 2-line block ×6, first 2 shown]
	v_mul_f32_e32 v253, 0x3df6dbef, v146
	v_mov_b32_e32 v142, v253
	buffer_store_dword v254, off, s[24:27], 0 offset:28 ; 4-byte Folded Spill
	v_mul_f32_e32 v254, 0xbf788fa5, v147
	v_fmac_f32_e32 v142, 0x3f7e222b, v149
	v_mov_b32_e32 v143, v254
	v_add_f32_e32 v142, v121, v142
	v_fmac_f32_e32 v143, 0x3e750f2a, v151
	buffer_store_dword v255, off, s[24:27], 0 offset:32 ; 4-byte Folded Spill
	v_mul_f32_e32 v255, 0xbeb58ec6, v152
	v_add_f32_e32 v142, v143, v142
	v_mov_b32_e32 v143, v255
	v_fmac_f32_e32 v143, 0xbf6f5d39, v154
	v_mul_f32_e32 v196, 0x3f62ad3f, v155
	v_add_f32_e32 v142, v143, v142
	v_mov_b32_e32 v143, v196
	v_fmac_f32_e32 v143, 0xbeedf032, v157
	buffer_store_dword v206, off, s[24:27], 0 offset:16 ; 4-byte Folded Spill
	v_mul_f32_e32 v206, 0x3f116cb1, v158
	v_mov_b32_e32 v190, v185
	v_add_f32_e32 v142, v143, v142
	v_mov_b32_e32 v143, v206
	v_mov_b32_e32 v189, v184
	;; [unrolled: 1-line block ×4, first 2 shown]
	v_fmac_f32_e32 v143, 0x3f52af12, v191
	v_mov_b32_e32 v185, v179
	v_mul_f32_e32 v180, 0xbf3f9e67, v192
	v_add_f32_e32 v142, v143, v142
	v_mov_b32_e32 v143, v180
	v_fmac_f32_e32 v143, 0x3f29c268, v210
	v_mul_f32_e32 v207, 0xbf7e222b, v212
	v_add_f32_e32 v143, v143, v142
	v_mov_b32_e32 v142, v207
	v_mul_f32_e32 v208, 0xbe750f2a, v215
	v_fmac_f32_e32 v142, 0x3df6dbef, v211
	v_mov_b32_e32 v144, v208
	v_fmac_f32_e32 v229, 0xbf29c268, v149
	v_add_f32_e32 v142, v120, v142
	v_fmac_f32_e32 v144, 0xbf788fa5, v214
	v_mul_f32_e32 v209, 0x3f6f5d39, v218
	v_fmac_f32_e32 v230, 0x3f7e222b, v151
	v_add_f32_e32 v142, v144, v142
	v_mov_b32_e32 v144, v209
	v_add_f32_e32 v113, v129, v113
	v_fmac_f32_e32 v231, 0xbf52af12, v154
	v_fmac_f32_e32 v144, 0xbeb58ec6, v217
	v_mul_f32_e32 v141, 0x3eedf032, v221
	v_add_f32_e32 v113, v131, v113
	v_fmac_f32_e32 v232, 0x3e750f2a, v157
	v_add_f32_e32 v142, v144, v142
	v_mov_b32_e32 v144, v141
	v_add_f32_e32 v113, v133, v113
	v_fmac_f32_e32 v233, 0x3eedf032, v191
	v_fmac_f32_e32 v144, 0x3f62ad3f, v220
	v_mul_f32_e32 v197, 0xbf52af12, v224
	v_add_f32_e32 v113, v135, v113
	v_fmac_f32_e32 v234, 0xbf6f5d39, v210
	v_add_f32_e32 v142, v144, v142
	v_mov_b32_e32 v144, v197
	v_mov_b32_e32 v138, v201
	v_add_f32_e32 v113, v117, v113
	v_fmac_f32_e32 v144, 0x3f116cb1, v223
	v_mov_b32_e32 v139, v202
	v_mul_f32_e32 v201, 0xbf29c268, v227
	v_fma_f32 v118, v214, s12, -v213
	v_add_f32_e32 v142, v144, v142
	s_waitcnt vmcnt(3)
	v_fma_f32 v114, v211, s15, -v0
	buffer_load_dword v0, off, s[24:27], 0 offset:64 ; 4-byte Folded Reload
	v_add_f32_e32 v114, v120, v114
	v_mov_b32_e32 v144, v201
	v_fmac_f32_e32 v144, 0xbf3f9e67, v226
	v_mul_f32_e32 v202, 0x3f116cb1, v146
	v_mov_b32_e32 v136, v203
	v_add_f32_e32 v142, v144, v142
	v_mov_b32_e32 v144, v202
	v_mov_b32_e32 v137, v204
	v_mul_f32_e32 v203, 0xbeb58ec6, v147
	v_fmac_f32_e32 v144, 0x3f52af12, v149
	v_mov_b32_e32 v145, v203
	v_fmac_f32_e32 v241, 0xbf6f5d39, v149
	v_add_f32_e32 v144, v121, v144
	v_fmac_f32_e32 v145, 0x3f6f5d39, v151
	v_mul_f32_e32 v204, 0xbf788fa5, v152
	v_fmac_f32_e32 v242, 0x3f29c268, v151
	v_add_f32_e32 v144, v145, v144
	v_mov_b32_e32 v145, v204
	v_fmac_f32_e32 v243, 0x3eedf032, v154
	v_fmac_f32_e32 v145, 0x3e750f2a, v154
	buffer_store_dword v205, off, s[24:27], 0 offset:12 ; 4-byte Folded Spill
	v_mul_f32_e32 v205, 0xbf3f9e67, v155
	v_fmac_f32_e32 v244, 0xbf7e222b, v157
	v_add_f32_e32 v144, v145, v144
	v_mov_b32_e32 v145, v205
	v_fmac_f32_e32 v245, 0x3e750f2a, v191
	v_fmac_f32_e32 v145, 0xbf29c268, v157
	buffer_store_dword v194, off, s[24:27], 0 offset:8 ; 4-byte Folded Spill
	v_mul_f32_e32 v194, 0x3df6dbef, v158
	v_fmac_f32_e32 v246, 0x3f52af12, v210
	v_add_f32_e32 v144, v145, v144
	v_mov_b32_e32 v145, v194
	v_add_f32_e32 v113, v119, v113
	v_fmac_f32_e32 v145, 0xbf7e222b, v191
	buffer_store_dword v162, off, s[24:27], 0 offset:76 ; 4-byte Folded Spill
	v_mul_f32_e32 v162, 0x3f62ad3f, v192
	v_fma_f32 v122, v214, s14, -v2
	v_add_f32_e32 v144, v145, v144
	v_mov_b32_e32 v145, v162
	v_fmac_f32_e32 v145, 0xbeedf032, v210
	buffer_store_dword v163, off, s[24:27], 0 offset:80 ; 4-byte Folded Spill
	v_mul_f32_e32 v163, 0xbf52af12, v212
	v_add_f32_e32 v145, v145, v144
	v_mov_b32_e32 v144, v163
	v_mov_b32_e32 v1, v165
	v_mul_f32_e32 v164, 0xbf6f5d39, v215
	v_mov_b32_e32 v236, v161
	v_fmac_f32_e32 v144, 0x3f116cb1, v211
	v_mov_b32_e32 v165, v164
	v_mov_b32_e32 v235, v160
	;; [unrolled: 1-line block ×3, first 2 shown]
	v_fmac_f32_e32 v253, 0xbf7e222b, v149
	v_add_f32_e32 v144, v120, v144
	v_fmac_f32_e32 v165, 0xbeb58ec6, v214
	v_mul_f32_e32 v166, 0xbe750f2a, v218
	v_mov_b32_e32 v161, v188
	v_mov_b32_e32 v188, v182
	v_fmac_f32_e32 v254, 0xbe750f2a, v151
	v_add_f32_e32 v144, v165, v144
	v_mov_b32_e32 v165, v166
	v_mov_b32_e32 v187, v181
	;; [unrolled: 1-line block ×3, first 2 shown]
	buffer_store_dword v183, off, s[24:27], 0 offset:4 ; 4-byte Folded Spill
	v_mov_b32_e32 v184, v178
	v_fmac_f32_e32 v255, 0x3f6f5d39, v154
	v_fmac_f32_e32 v165, 0xbf788fa5, v217
	v_mov_b32_e32 v181, v175
	v_mov_b32_e32 v183, v177
	;; [unrolled: 1-line block ×4, first 2 shown]
	v_fmac_f32_e32 v196, 0x3eedf032, v157
	v_add_f32_e32 v144, v165, v144
	v_mul_f32_e32 v165, 0x3f29c268, v221
	v_mov_b32_e32 v176, v171
	v_mov_b32_e32 v178, v173
	;; [unrolled: 1-line block ×3, first 2 shown]
	v_fmac_f32_e32 v206, 0xbf52af12, v191
	v_mov_b32_e32 v172, v167
	v_mov_b32_e32 v167, v165
	s_waitcnt vmcnt(5)
	v_fma_f32 v116, v214, s4, -v0
	buffer_load_dword v0, off, s[24:27], 0 offset:68 ; 4-byte Folded Reload
	v_add_f32_e32 v114, v116, v114
	v_fmac_f32_e32 v180, 0xbf29c268, v210
	v_fmac_f32_e32 v167, 0xbf3f9e67, v220
	v_mul_f32_e32 v168, 0x3f7e222b, v224
	v_add_f32_e32 v144, v167, v144
	v_mov_b32_e32 v167, v168
	v_fma_f32 v124, v214, s15, -v208
	v_fmac_f32_e32 v167, 0x3df6dbef, v223
	v_add_f32_e32 v144, v167, v144
	v_mul_f32_e32 v167, 0x3eedf032, v227
	v_mov_b32_e32 v175, v170
	v_mov_b32_e32 v174, v169
	;; [unrolled: 1-line block ×3, first 2 shown]
	v_fmac_f32_e32 v169, 0x3f62ad3f, v226
	v_fmac_f32_e32 v202, 0xbf52af12, v149
	v_add_f32_e32 v144, v169, v144
	v_mul_f32_e32 v169, 0x3f62ad3f, v146
	v_fmac_f32_e32 v203, 0xbf6f5d39, v151
	v_mov_b32_e32 v146, v169
	v_mul_f32_e32 v170, 0x3f116cb1, v147
	v_fmac_f32_e32 v204, 0xbe750f2a, v154
	v_fmac_f32_e32 v146, 0x3eedf032, v149
	v_mov_b32_e32 v147, v170
	v_fmac_f32_e32 v205, 0x3f29c268, v157
	v_add_f32_e32 v146, v121, v146
	v_fmac_f32_e32 v147, 0x3f52af12, v151
	v_mul_f32_e32 v152, 0x3df6dbef, v152
	v_fmac_f32_e32 v194, 0x3f7e222b, v191
	v_add_f32_e32 v146, v147, v146
	v_mov_b32_e32 v147, v152
	v_fmac_f32_e32 v162, 0x3eedf032, v210
	v_fmac_f32_e32 v147, 0x3f7e222b, v154
	v_mul_f32_e32 v155, 0xbeb58ec6, v155
	v_fmac_f32_e32 v169, 0xbeedf032, v149
	v_add_f32_e32 v146, v147, v146
	v_mov_b32_e32 v147, v155
	v_fma_f32 v126, v214, s13, -v164
	v_fmac_f32_e32 v170, 0xbf52af12, v151
	v_fmac_f32_e32 v147, 0x3f6f5d39, v157
	v_mul_f32_e32 v158, 0xbf3f9e67, v158
	v_fmac_f32_e32 v152, 0xbf7e222b, v154
	v_add_f32_e32 v146, v147, v146
	v_mov_b32_e32 v147, v158
	v_fmac_f32_e32 v155, 0xbf6f5d39, v157
	v_fmac_f32_e32 v147, 0x3f29c268, v191
	v_mul_f32_e32 v171, 0xbf788fa5, v192
	v_fmac_f32_e32 v158, 0xbf29c268, v191
	v_add_f32_e32 v146, v147, v146
	v_mov_b32_e32 v147, v171
	v_fmac_f32_e32 v171, 0xbe750f2a, v210
	v_add_f32_e32 v113, v1, v113
	v_fmac_f32_e32 v147, 0x3e750f2a, v210
	v_mul_f32_e32 v192, 0xbeedf032, v212
	v_add_f32_e32 v147, v147, v146
	v_mov_b32_e32 v146, v192
	v_mul_f32_e32 v212, 0xbf52af12, v215
	v_fmac_f32_e32 v146, 0x3f62ad3f, v211
	v_mov_b32_e32 v215, v212
	v_add_f32_e32 v146, v120, v146
	v_fmac_f32_e32 v215, 0x3f116cb1, v214
	v_add_f32_e32 v146, v215, v146
	v_mul_f32_e32 v215, 0xbf7e222b, v218
	v_mov_b32_e32 v218, v215
	v_fmac_f32_e32 v218, 0x3df6dbef, v217
	v_add_f32_e32 v146, v218, v146
	v_mul_f32_e32 v218, 0xbf6f5d39, v221
	v_mov_b32_e32 v221, v218
	;; [unrolled: 4-line block ×4, first 2 shown]
	v_fmac_f32_e32 v227, 0xbf788fa5, v226
	v_add_f32_e32 v146, v227, v146
	v_add_u32_e32 v208, 0x410, v193
	s_waitcnt vmcnt(0)
	v_fma_f32 v116, v217, s14, -v0
	buffer_load_dword v0, off, s[24:27], 0 offset:72 ; 4-byte Folded Reload
	v_add_f32_e32 v114, v116, v114
	s_waitcnt vmcnt(0)
	v_fma_f32 v116, v220, s5, -v0
	v_add_f32_e32 v114, v116, v114
	v_fma_f32 v116, v223, s13, -v225
	v_add_f32_e32 v114, v116, v114
	v_fma_f32 v116, v226, s12, -v228
	v_add_f32_e32 v114, v116, v114
	v_add_f32_e32 v116, v121, v229
	v_add_f32_e32 v116, v230, v116
	v_add_f32_e32 v116, v231, v116
	v_add_f32_e32 v116, v232, v116
	v_add_f32_e32 v116, v233, v116
	v_add_f32_e32 v117, v234, v116
	v_fma_f32 v116, v211, s14, -v219
	v_add_f32_e32 v116, v120, v116
	v_add_f32_e32 v116, v118, v116
	v_fma_f32 v118, v217, s5, -v237
	v_add_f32_e32 v116, v118, v116
	v_fma_f32 v118, v220, s15, -v238
	v_add_f32_e32 v116, v118, v116
	v_fma_f32 v118, v223, s4, -v239
	v_add_f32_e32 v116, v118, v116
	v_fma_f32 v118, v226, s13, -v240
	v_add_f32_e32 v116, v118, v116
	v_add_f32_e32 v118, v121, v241
	v_add_f32_e32 v118, v242, v118
	v_add_f32_e32 v118, v243, v118
	v_add_f32_e32 v118, v244, v118
	v_add_f32_e32 v118, v245, v118
	v_add_f32_e32 v119, v246, v118
	v_fma_f32 v118, v211, s13, -v222
	v_add_f32_e32 v118, v120, v118
	v_add_f32_e32 v118, v122, v118
	v_fma_f32 v122, v217, s4, -v3
	v_add_f32_e32 v118, v122, v118
	;; [unrolled: 17-line block ×3, first 2 shown]
	v_fma_f32 v124, v220, s4, -v141
	v_add_f32_e32 v122, v124, v122
	v_fma_f32 v124, v223, s5, -v197
	v_add_f32_e32 v122, v124, v122
	;; [unrolled: 2-line block ×3, first 2 shown]
	v_add_f32_e32 v124, v121, v202
	v_add_f32_e32 v124, v203, v124
	;; [unrolled: 1-line block ×6, first 2 shown]
	v_fma_f32 v124, v211, s5, -v163
	v_add_f32_e32 v124, v120, v124
	v_add_f32_e32 v121, v121, v169
	;; [unrolled: 1-line block ×3, first 2 shown]
	v_fma_f32 v126, v217, s15, -v166
	v_add_f32_e32 v121, v170, v121
	v_add_f32_e32 v124, v126, v124
	v_fma_f32 v126, v220, s14, -v165
	v_add_f32_e32 v121, v152, v121
	v_add_f32_e32 v124, v126, v124
	;; [unrolled: 3-line block ×3, first 2 shown]
	v_fma_f32 v126, v226, s4, -v167
	v_mov_b32_e32 v167, v172
	v_mov_b32_e32 v169, v174
	v_add_f32_e32 v121, v158, v121
	v_mov_b32_e32 v168, v173
	v_mov_b32_e32 v170, v175
	;; [unrolled: 1-line block ×3, first 2 shown]
	v_add_f32_e32 v121, v171, v121
	v_mov_b32_e32 v171, v176
	v_mov_b32_e32 v174, v179
	;; [unrolled: 1-line block ×4, first 2 shown]
	buffer_load_dword v252, off, s[24:27], 0 offset:20 ; 4-byte Folded Reload
	buffer_load_dword v253, off, s[24:27], 0 offset:24 ; 4-byte Folded Reload
	;; [unrolled: 1-line block ×7, first 2 shown]
	v_mov_b32_e32 v178, v184
	buffer_load_dword v183, off, s[24:27], 0 offset:4 ; 4-byte Folded Reload
	buffer_load_dword v0, off, s[24:27], 0 offset:76 ; 4-byte Folded Reload
	;; [unrolled: 1-line block ×3, first 2 shown]
	v_add_f32_e32 v124, v126, v124
	v_fma_f32 v126, v211, s4, -v192
	v_add_f32_e32 v120, v120, v126
	v_fma_f32 v126, v214, s5, -v212
	;; [unrolled: 2-line block ×6, first 2 shown]
	v_add_f32_e32 v120, v126, v120
	v_mov_b32_e32 v175, v181
	v_mov_b32_e32 v176, v182
	;; [unrolled: 1-line block ×12, first 2 shown]
	v_add_u32_e32 v207, 0x618, v193
	v_add_u32_e32 v197, 0x820, v193
	v_mov_b32_e32 v201, v138
	v_mov_b32_e32 v203, v136
	;; [unrolled: 1-line block ×5, first 2 shown]
	s_waitcnt vmcnt(0)
	v_lshl_add_u32 v126, v1, 3, v0
	ds_write2_b64 v126, v[112:113], v[146:147] offset1:1
	ds_write2_b64 v126, v[144:145], v[142:143] offset0:2 offset1:3
	buffer_load_dword v0, off, s[24:27], 0 offset:44 ; 4-byte Folded Reload
	buffer_load_dword v1, off, s[24:27], 0 offset:48 ; 4-byte Folded Reload
	buffer_load_dword v2, off, s[24:27], 0 offset:52 ; 4-byte Folded Reload
	buffer_load_dword v3, off, s[24:27], 0 offset:56 ; 4-byte Folded Reload
	s_waitcnt vmcnt(0)
	ds_write2_b64 v126, v[2:3], v[0:1] offset0:4 offset1:5
	buffer_load_dword v0, off, s[24:27], 0 offset:36 ; 4-byte Folded Reload
	buffer_load_dword v1, off, s[24:27], 0 offset:40 ; 4-byte Folded Reload
	s_waitcnt vmcnt(0)
	ds_write2_b64 v126, v[0:1], v[114:115] offset0:6 offset1:7
	ds_write2_b64 v126, v[116:117], v[118:119] offset0:8 offset1:9
	;; [unrolled: 1-line block ×3, first 2 shown]
	ds_write_b64 v126, v[120:121] offset:96
.LBB0_13:
	s_or_b64 exec, exec, s[2:3]
	v_add_u32_e32 v127, 0x800, v193
	s_waitcnt lgkmcnt(0)
	s_barrier
	ds_read2_b64 v[112:115], v127 offset0:4 offset1:69
	v_add_u32_e32 v126, 0x1000, v193
	v_add_u32_e32 v128, 0x1800, v193
	ds_read2_b64 v[131:134], v126 offset0:138 offset1:203
	ds_read2_b64 v[135:138], v128 offset0:142 offset1:207
	v_add_u32_e32 v129, 0x2800, v193
	ds_read2_b64 v[116:119], v193 offset1:65
	ds_read2_b64 v[139:142], v129 offset0:20 offset1:85
	ds_read2_b64 v[143:146], v127 offset0:134 offset1:199
	s_waitcnt lgkmcnt(5)
	v_mul_f32_e32 v159, v5, v115
	v_mul_f32_e32 v5, v5, v114
	v_fmac_f32_e32 v159, v4, v114
	v_fma_f32 v114, v4, v115, -v5
	s_waitcnt lgkmcnt(4)
	v_mul_f32_e32 v115, v7, v132
	v_mul_f32_e32 v4, v7, v131
	s_waitcnt lgkmcnt(3)
	v_mul_f32_e32 v7, v249, v138
	s_waitcnt lgkmcnt(1)
	v_mul_f32_e32 v0, v251, v139
	v_fmac_f32_e32 v7, v248, v137
	v_mul_f32_e32 v1, v249, v137
	v_mul_f32_e32 v5, v251, v140
	v_fma_f32 v137, v250, v140, -v0
	s_waitcnt lgkmcnt(0)
	v_mul_f32_e32 v0, v13, v143
	v_add_u32_e32 v130, 0x2000, v193
	v_fmac_f32_e32 v5, v250, v139
	v_fma_f32 v139, v12, v144, -v0
	v_mul_f32_e32 v140, v15, v134
	v_mul_f32_e32 v0, v15, v133
	ds_read2_b64 v[147:150], v130 offset0:16 offset1:81
	ds_read2_b64 v[120:123], v193 offset0:130 offset1:195
	;; [unrolled: 1-line block ×6, first 2 shown]
	ds_read_b64 v[195:196], v193 offset:12480
	v_fmac_f32_e32 v115, v6, v131
	v_fma_f32 v131, v6, v132, -v4
	v_fma_f32 v132, v248, v138, -v1
	v_mul_f32_e32 v138, v13, v144
	v_fmac_f32_e32 v140, v14, v133
	v_fma_f32 v133, v14, v134, -v0
	s_waitcnt lgkmcnt(6)
	v_mul_f32_e32 v0, v9, v147
	v_fmac_f32_e32 v138, v12, v143
	v_fma_f32 v143, v8, v148, -v0
	v_mul_f32_e32 v15, v11, v142
	v_mul_f32_e32 v0, v11, v141
	v_fmac_f32_e32 v15, v10, v141
	v_fma_f32 v141, v10, v142, -v0
	v_mul_f32_e32 v0, v21, v145
	v_fma_f32 v144, v20, v146, -v0
	s_waitcnt lgkmcnt(4)
	v_mul_f32_e32 v0, v23, v151
	v_mul_f32_e32 v134, v9, v148
	;; [unrolled: 1-line block ×3, first 2 shown]
	v_fma_f32 v146, v22, v152, -v0
	v_mul_f32_e32 v0, v17, v149
	v_fmac_f32_e32 v134, v8, v147
	v_mul_f32_e32 v147, v17, v150
	v_fma_f32 v148, v16, v150, -v0
	s_waitcnt lgkmcnt(3)
	v_mul_f32_e32 v0, v19, v155
	v_fmac_f32_e32 v142, v20, v145
	v_mul_f32_e32 v145, v23, v152
	v_fmac_f32_e32 v147, v16, v149
	v_fma_f32 v149, v18, v156, -v0
	s_waitcnt lgkmcnt(2)
	v_mul_f32_e32 v0, v29, v189
	v_fmac_f32_e32 v145, v22, v151
	v_fma_f32 v151, v28, v190, -v0
	v_mul_f32_e32 v152, v31, v154
	v_mul_f32_e32 v0, v31, v153
	v_add_f32_e32 v1, v115, v7
	v_mul_f32_e32 v23, v19, v156
	v_fmac_f32_e32 v152, v30, v153
	v_fma_f32 v153, v30, v154, -v0
	s_waitcnt lgkmcnt(1)
	v_mul_f32_e32 v0, v25, v210
	v_fma_f32 v2, -0.5, v1, v116
	v_fmac_f32_e32 v23, v18, v155
	v_fma_f32 v155, v24, v211, -v0
	v_mul_f32_e32 v156, v27, v158
	v_mul_f32_e32 v0, v27, v157
	v_sub_f32_e32 v1, v114, v137
	v_mov_b32_e32 v4, v2
	v_fmac_f32_e32 v156, v26, v157
	v_fma_f32 v157, v26, v158, -v0
	v_mul_f32_e32 v0, v37, v191
	v_fmac_f32_e32 v4, 0xbf737871, v1
	v_sub_f32_e32 v3, v131, v132
	v_sub_f32_e32 v6, v159, v115
	;; [unrolled: 1-line block ×3, first 2 shown]
	v_fmac_f32_e32 v2, 0x3f737871, v1
	v_fma_f32 v162, v36, v192, -v0
	v_mul_f32_e32 v163, v39, v136
	v_mul_f32_e32 v0, v39, v135
	v_fmac_f32_e32 v4, 0xbf167918, v3
	v_add_f32_e32 v6, v6, v8
	v_fmac_f32_e32 v2, 0x3f167918, v3
	v_fmac_f32_e32 v163, v38, v135
	v_fma_f32 v135, v38, v136, -v0
	v_mul_f32_e32 v0, v33, v212
	v_fmac_f32_e32 v4, 0x3e9e377a, v6
	v_fmac_f32_e32 v2, 0x3e9e377a, v6
	v_add_f32_e32 v6, v159, v5
	v_fma_f32 v164, v32, v213, -v0
	s_waitcnt lgkmcnt(0)
	v_mul_f32_e32 v0, v35, v195
	v_fma_f32 v6, -0.5, v6, v116
	v_fma_f32 v166, v34, v196, -v0
	v_add_f32_e32 v0, v116, v159
	v_mov_b32_e32 v8, v6
	v_add_f32_e32 v0, v0, v115
	v_fmac_f32_e32 v8, 0x3f737871, v3
	v_fmac_f32_e32 v6, 0xbf737871, v3
	v_add_f32_e32 v3, v131, v132
	v_add_f32_e32 v0, v0, v7
	v_sub_f32_e32 v9, v115, v159
	v_sub_f32_e32 v10, v7, v5
	v_fma_f32 v3, -0.5, v3, v117
	v_add_f32_e32 v0, v0, v5
	v_fmac_f32_e32 v8, 0xbf167918, v1
	v_add_f32_e32 v9, v9, v10
	v_fmac_f32_e32 v6, 0x3f167918, v1
	v_sub_f32_e32 v10, v159, v5
	v_mov_b32_e32 v5, v3
	v_fmac_f32_e32 v8, 0x3e9e377a, v9
	v_fmac_f32_e32 v6, 0x3e9e377a, v9
	;; [unrolled: 1-line block ×3, first 2 shown]
	v_sub_f32_e32 v11, v115, v7
	v_sub_f32_e32 v7, v114, v131
	;; [unrolled: 1-line block ×3, first 2 shown]
	v_fmac_f32_e32 v3, 0xbf737871, v10
	v_fmac_f32_e32 v5, 0x3f167918, v11
	v_add_f32_e32 v7, v7, v9
	v_fmac_f32_e32 v3, 0xbf167918, v11
	v_fmac_f32_e32 v5, 0x3e9e377a, v7
	;; [unrolled: 1-line block ×3, first 2 shown]
	v_add_f32_e32 v7, v114, v137
	v_fma_f32 v7, -0.5, v7, v117
	v_mov_b32_e32 v9, v7
	v_fmac_f32_e32 v9, 0xbf737871, v11
	v_sub_f32_e32 v12, v131, v114
	v_sub_f32_e32 v13, v132, v137
	v_fmac_f32_e32 v7, 0x3f737871, v11
	v_fmac_f32_e32 v9, 0x3f167918, v10
	v_add_f32_e32 v12, v12, v13
	v_fmac_f32_e32 v7, 0xbf167918, v10
	v_add_f32_e32 v11, v140, v134
	v_fmac_f32_e32 v9, 0x3e9e377a, v12
	v_fmac_f32_e32 v7, 0x3e9e377a, v12
	v_fma_f32 v12, -0.5, v11, v118
	v_sub_f32_e32 v11, v139, v141
	v_mov_b32_e32 v14, v12
	v_fmac_f32_e32 v14, 0xbf737871, v11
	v_sub_f32_e32 v13, v133, v143
	v_sub_f32_e32 v16, v138, v140
	;; [unrolled: 1-line block ×3, first 2 shown]
	v_fmac_f32_e32 v12, 0x3f737871, v11
	v_fmac_f32_e32 v14, 0xbf167918, v13
	v_add_f32_e32 v16, v16, v17
	v_fmac_f32_e32 v12, 0x3f167918, v13
	v_fmac_f32_e32 v14, 0x3e9e377a, v16
	;; [unrolled: 1-line block ×3, first 2 shown]
	v_add_f32_e32 v16, v138, v15
	v_add_f32_e32 v10, v118, v138
	v_fma_f32 v118, -0.5, v16, v118
	v_mov_b32_e32 v16, v118
	v_add_f32_e32 v10, v10, v140
	v_fmac_f32_e32 v16, 0x3f737871, v13
	v_fmac_f32_e32 v118, 0xbf737871, v13
	v_add_f32_e32 v13, v133, v143
	v_add_f32_e32 v10, v10, v134
	v_sub_f32_e32 v17, v140, v138
	v_sub_f32_e32 v18, v134, v15
	v_fma_f32 v13, -0.5, v13, v119
	v_add_f32_e32 v10, v10, v15
	v_fmac_f32_e32 v16, 0xbf167918, v11
	v_add_f32_e32 v17, v17, v18
	v_fmac_f32_e32 v118, 0x3f167918, v11
	v_sub_f32_e32 v18, v138, v15
	v_mov_b32_e32 v15, v13
	v_fmac_f32_e32 v16, 0x3e9e377a, v17
	v_fmac_f32_e32 v118, 0x3e9e377a, v17
	;; [unrolled: 1-line block ×3, first 2 shown]
	v_sub_f32_e32 v19, v140, v134
	v_sub_f32_e32 v17, v139, v133
	;; [unrolled: 1-line block ×3, first 2 shown]
	v_fmac_f32_e32 v13, 0xbf737871, v18
	v_fmac_f32_e32 v15, 0x3f167918, v19
	v_add_f32_e32 v17, v17, v20
	v_fmac_f32_e32 v13, 0xbf167918, v19
	v_fmac_f32_e32 v15, 0x3e9e377a, v17
	;; [unrolled: 1-line block ×3, first 2 shown]
	v_add_f32_e32 v17, v139, v141
	v_add_f32_e32 v11, v119, v139
	v_fmac_f32_e32 v119, -0.5, v17
	v_mov_b32_e32 v17, v119
	v_fmac_f32_e32 v17, 0xbf737871, v19
	v_sub_f32_e32 v20, v133, v139
	v_sub_f32_e32 v21, v143, v141
	v_fmac_f32_e32 v119, 0x3f737871, v19
	v_fmac_f32_e32 v17, 0x3f167918, v18
	v_add_f32_e32 v20, v20, v21
	v_fmac_f32_e32 v119, 0xbf167918, v18
	v_add_f32_e32 v19, v145, v147
	v_fmac_f32_e32 v17, 0x3e9e377a, v20
	v_fmac_f32_e32 v119, 0x3e9e377a, v20
	v_fma_f32 v20, -0.5, v19, v120
	v_mul_f32_e32 v154, v25, v211
	v_sub_f32_e32 v19, v144, v149
	v_mov_b32_e32 v22, v20
	v_fmac_f32_e32 v154, v24, v210
	v_fmac_f32_e32 v22, 0xbf737871, v19
	v_sub_f32_e32 v21, v146, v148
	v_sub_f32_e32 v24, v142, v145
	;; [unrolled: 1-line block ×3, first 2 shown]
	v_fmac_f32_e32 v20, 0x3f737871, v19
	v_fmac_f32_e32 v22, 0xbf167918, v21
	v_add_f32_e32 v24, v24, v25
	v_fmac_f32_e32 v20, 0x3f167918, v21
	v_fmac_f32_e32 v22, 0x3e9e377a, v24
	;; [unrolled: 1-line block ×3, first 2 shown]
	v_add_f32_e32 v24, v142, v23
	v_fma_f32 v24, -0.5, v24, v120
	v_add_f32_e32 v18, v120, v142
	v_mov_b32_e32 v26, v24
	v_add_f32_e32 v18, v18, v145
	v_fmac_f32_e32 v26, 0x3f737871, v21
	v_fmac_f32_e32 v24, 0xbf737871, v21
	v_add_f32_e32 v21, v146, v148
	v_mul_f32_e32 v150, v29, v190
	v_add_f32_e32 v18, v18, v147
	v_sub_f32_e32 v25, v145, v142
	v_sub_f32_e32 v27, v147, v23
	v_fma_f32 v21, -0.5, v21, v121
	v_fmac_f32_e32 v150, v28, v189
	v_add_f32_e32 v18, v18, v23
	v_fmac_f32_e32 v26, 0xbf167918, v19
	v_add_f32_e32 v25, v25, v27
	v_fmac_f32_e32 v24, 0x3f167918, v19
	v_sub_f32_e32 v28, v142, v23
	v_mov_b32_e32 v23, v21
	v_fmac_f32_e32 v26, 0x3e9e377a, v25
	v_fmac_f32_e32 v24, 0x3e9e377a, v25
	;; [unrolled: 1-line block ×3, first 2 shown]
	v_sub_f32_e32 v29, v145, v147
	v_sub_f32_e32 v25, v144, v146
	;; [unrolled: 1-line block ×3, first 2 shown]
	v_fmac_f32_e32 v21, 0xbf737871, v28
	v_fmac_f32_e32 v23, 0x3f167918, v29
	v_add_f32_e32 v25, v25, v27
	v_fmac_f32_e32 v21, 0xbf167918, v29
	v_fmac_f32_e32 v23, 0x3e9e377a, v25
	v_fmac_f32_e32 v21, 0x3e9e377a, v25
	v_add_f32_e32 v25, v144, v149
	v_fma_f32 v25, -0.5, v25, v121
	v_mov_b32_e32 v27, v25
	v_fmac_f32_e32 v27, 0xbf737871, v29
	v_sub_f32_e32 v30, v146, v144
	v_sub_f32_e32 v31, v148, v149
	v_fmac_f32_e32 v25, 0x3f737871, v29
	v_fmac_f32_e32 v27, 0x3f167918, v28
	v_add_f32_e32 v30, v30, v31
	v_fmac_f32_e32 v25, 0xbf167918, v28
	v_add_f32_e32 v29, v152, v154
	v_mul_f32_e32 v136, v33, v213
	v_fmac_f32_e32 v27, 0x3e9e377a, v30
	v_fmac_f32_e32 v25, 0x3e9e377a, v30
	v_fma_f32 v30, -0.5, v29, v122
	v_fmac_f32_e32 v136, v32, v212
	v_mul_f32_e32 v165, v35, v196
	v_sub_f32_e32 v29, v151, v157
	v_mov_b32_e32 v32, v30
	v_fmac_f32_e32 v165, v34, v195
	v_fmac_f32_e32 v32, 0xbf737871, v29
	v_sub_f32_e32 v31, v153, v155
	v_sub_f32_e32 v33, v150, v152
	;; [unrolled: 1-line block ×3, first 2 shown]
	v_fmac_f32_e32 v30, 0x3f737871, v29
	v_fmac_f32_e32 v32, 0xbf167918, v31
	v_add_f32_e32 v33, v33, v34
	v_fmac_f32_e32 v30, 0x3f167918, v31
	v_fmac_f32_e32 v32, 0x3e9e377a, v33
	;; [unrolled: 1-line block ×3, first 2 shown]
	v_add_f32_e32 v33, v150, v156
	v_add_f32_e32 v28, v122, v150
	v_fma_f32 v122, -0.5, v33, v122
	v_mov_b32_e32 v34, v122
	v_fmac_f32_e32 v34, 0x3f737871, v31
	v_sub_f32_e32 v33, v152, v150
	v_sub_f32_e32 v35, v154, v156
	v_fmac_f32_e32 v122, 0xbf737871, v31
	v_add_f32_e32 v31, v153, v155
	v_mul_f32_e32 v158, v37, v192
	v_fmac_f32_e32 v34, 0xbf167918, v29
	v_add_f32_e32 v33, v33, v35
	v_fmac_f32_e32 v122, 0x3f167918, v29
	v_fma_f32 v31, -0.5, v31, v123
	v_fmac_f32_e32 v158, v36, v191
	v_fmac_f32_e32 v34, 0x3e9e377a, v33
	;; [unrolled: 1-line block ×3, first 2 shown]
	v_sub_f32_e32 v36, v150, v156
	v_mov_b32_e32 v33, v31
	v_fmac_f32_e32 v33, 0x3f737871, v36
	v_sub_f32_e32 v37, v152, v154
	v_sub_f32_e32 v35, v151, v153
	v_sub_f32_e32 v38, v157, v155
	v_fmac_f32_e32 v31, 0xbf737871, v36
	v_fmac_f32_e32 v33, 0x3f167918, v37
	v_add_f32_e32 v35, v35, v38
	v_fmac_f32_e32 v31, 0xbf167918, v37
	v_fmac_f32_e32 v33, 0x3e9e377a, v35
	;; [unrolled: 1-line block ×3, first 2 shown]
	v_add_f32_e32 v35, v151, v157
	v_add_f32_e32 v29, v123, v151
	v_fmac_f32_e32 v123, -0.5, v35
	v_mov_b32_e32 v35, v123
	v_fmac_f32_e32 v35, 0xbf737871, v37
	v_sub_f32_e32 v38, v153, v151
	v_sub_f32_e32 v39, v155, v157
	v_fmac_f32_e32 v123, 0x3f737871, v37
	v_fmac_f32_e32 v35, 0x3f167918, v36
	v_add_f32_e32 v38, v38, v39
	v_fmac_f32_e32 v123, 0xbf167918, v36
	v_add_f32_e32 v37, v163, v136
	v_fmac_f32_e32 v35, 0x3e9e377a, v38
	v_fmac_f32_e32 v123, 0x3e9e377a, v38
	v_fma_f32 v38, -0.5, v37, v112
	v_add_f32_e32 v1, v117, v114
	v_sub_f32_e32 v37, v162, v166
	v_mov_b32_e32 v114, v38
	v_fmac_f32_e32 v114, 0xbf737871, v37
	v_sub_f32_e32 v39, v135, v164
	v_sub_f32_e32 v115, v158, v163
	;; [unrolled: 1-line block ×3, first 2 shown]
	v_fmac_f32_e32 v38, 0x3f737871, v37
	v_fmac_f32_e32 v114, 0xbf167918, v39
	v_add_f32_e32 v115, v115, v116
	v_fmac_f32_e32 v38, 0x3f167918, v39
	v_fmac_f32_e32 v114, 0x3e9e377a, v115
	;; [unrolled: 1-line block ×3, first 2 shown]
	v_add_f32_e32 v115, v158, v165
	v_add_f32_e32 v36, v112, v158
	v_fma_f32 v112, -0.5, v115, v112
	v_mov_b32_e32 v116, v112
	v_fmac_f32_e32 v116, 0x3f737871, v39
	v_sub_f32_e32 v115, v163, v158
	v_sub_f32_e32 v117, v136, v165
	v_fmac_f32_e32 v112, 0xbf737871, v39
	v_add_f32_e32 v39, v135, v164
	v_fmac_f32_e32 v116, 0xbf167918, v37
	v_add_f32_e32 v115, v115, v117
	v_fmac_f32_e32 v112, 0x3f167918, v37
	v_fma_f32 v39, -0.5, v39, v113
	v_fmac_f32_e32 v116, 0x3e9e377a, v115
	v_fmac_f32_e32 v112, 0x3e9e377a, v115
	v_sub_f32_e32 v120, v158, v165
	v_mov_b32_e32 v115, v39
	v_add_f32_e32 v1, v1, v131
	v_add_f32_e32 v19, v121, v144
	v_fmac_f32_e32 v115, 0x3f737871, v120
	v_sub_f32_e32 v121, v163, v136
	v_sub_f32_e32 v117, v162, v135
	;; [unrolled: 1-line block ×3, first 2 shown]
	v_fmac_f32_e32 v39, 0xbf737871, v120
	v_fmac_f32_e32 v115, 0x3f167918, v121
	v_add_f32_e32 v117, v117, v131
	v_fmac_f32_e32 v39, 0xbf167918, v121
	v_fmac_f32_e32 v115, 0x3e9e377a, v117
	v_fmac_f32_e32 v39, 0x3e9e377a, v117
	v_add_f32_e32 v117, v162, v166
	v_add_f32_e32 v37, v113, v162
	v_fmac_f32_e32 v113, -0.5, v117
	v_mov_b32_e32 v117, v113
	v_add_f32_e32 v1, v1, v132
	v_add_f32_e32 v11, v11, v133
	;; [unrolled: 1-line block ×7, first 2 shown]
	v_fmac_f32_e32 v117, 0xbf737871, v121
	v_sub_f32_e32 v131, v135, v162
	v_sub_f32_e32 v132, v164, v166
	v_fmac_f32_e32 v113, 0x3f737871, v121
	v_add_f32_e32 v11, v11, v143
	v_add_f32_e32 v19, v19, v148
	;; [unrolled: 1-line block ×6, first 2 shown]
	v_fmac_f32_e32 v117, 0x3f167918, v120
	v_add_f32_e32 v131, v131, v132
	v_fmac_f32_e32 v113, 0xbf167918, v120
	v_add_f32_e32 v1, v1, v137
	v_add_f32_e32 v11, v11, v141
	;; [unrolled: 1-line block ×7, first 2 shown]
	v_fmac_f32_e32 v117, 0x3e9e377a, v131
	v_fmac_f32_e32 v113, 0x3e9e377a, v131
	s_barrier
	ds_write2_b64 v194, v[0:1], v[4:5] offset1:13
	ds_write2_b64 v194, v[8:9], v[6:7] offset0:26 offset1:39
	ds_write_b64 v194, v[2:3] offset:416
	ds_write2_b64 v205, v[10:11], v[14:15] offset1:13
	ds_write2_b64 v205, v[16:17], v[118:119] offset0:26 offset1:39
	ds_write_b64 v205, v[12:13] offset:416
	;; [unrolled: 3-line block ×5, first 2 shown]
	s_waitcnt lgkmcnt(0)
	s_barrier
	ds_read2_b64 v[8:11], v193 offset1:65
	ds_read2_b64 v[0:3], v127 offset0:4 offset1:69
	ds_read2_b64 v[12:15], v126 offset0:138 offset1:203
	ds_read2_b64 v[16:19], v128 offset0:142 offset1:207
	ds_read2_b64 v[20:23], v129 offset0:20 offset1:85
	ds_read2_b64 v[24:27], v127 offset0:134 offset1:199
	ds_read2_b64 v[28:31], v130 offset0:16 offset1:81
	ds_read2_b64 v[4:7], v193 offset0:130 offset1:195
	ds_read2_b64 v[32:35], v128 offset0:12 offset1:77
	ds_read2_b64 v[36:39], v129 offset0:150 offset1:215
	ds_read2_b64 v[112:115], v126 offset0:8 offset1:73
	ds_read2_b64 v[116:119], v130 offset0:146 offset1:211
	ds_read_b64 v[120:121], v193 offset:12480
	s_waitcnt lgkmcnt(11)
	v_mul_f32_e32 v122, v45, v3
	v_fmac_f32_e32 v122, v44, v2
	v_mul_f32_e32 v2, v45, v2
	v_fma_f32 v123, v44, v3, -v2
	s_waitcnt lgkmcnt(10)
	v_mul_f32_e32 v2, v47, v12
	v_fma_f32 v132, v46, v13, -v2
	s_waitcnt lgkmcnt(9)
	v_mul_f32_e32 v133, v41, v19
	v_mul_f32_e32 v2, v41, v18
	v_fmac_f32_e32 v133, v40, v18
	v_fma_f32 v18, v40, v19, -v2
	s_waitcnt lgkmcnt(8)
	v_mul_f32_e32 v19, v43, v21
	v_mul_f32_e32 v2, v43, v20
	v_fmac_f32_e32 v19, v42, v20
	v_fma_f32 v20, v42, v21, -v2
	s_waitcnt lgkmcnt(7)
	v_mul_f32_e32 v134, v45, v25
	v_mul_f32_e32 v2, v45, v24
	;; [unrolled: 1-line block ×3, first 2 shown]
	v_fmac_f32_e32 v134, v44, v24
	v_fma_f32 v44, v44, v25, -v2
	v_mul_f32_e32 v25, v47, v15
	v_mul_f32_e32 v2, v47, v14
	v_fmac_f32_e32 v131, v46, v12
	v_fmac_f32_e32 v25, v46, v14
	v_fma_f32 v45, v46, v15, -v2
	s_waitcnt lgkmcnt(6)
	v_mul_f32_e32 v46, v41, v29
	v_mul_f32_e32 v2, v41, v28
	v_fmac_f32_e32 v46, v40, v28
	v_fma_f32 v28, v40, v29, -v2
	v_mul_f32_e32 v2, v43, v22
	v_mul_f32_e32 v29, v43, v23
	v_fma_f32 v40, v42, v23, -v2
	v_mul_f32_e32 v2, v53, v26
	v_fmac_f32_e32 v29, v42, v22
	v_fma_f32 v42, v52, v27, -v2
	s_waitcnt lgkmcnt(4)
	v_mul_f32_e32 v2, v55, v32
	v_mul_f32_e32 v43, v55, v33
	v_fma_f32 v47, v54, v33, -v2
	v_mul_f32_e32 v33, v49, v31
	v_mul_f32_e32 v2, v49, v30
	v_fmac_f32_e32 v33, v48, v30
	v_fma_f32 v48, v48, v31, -v2
	s_waitcnt lgkmcnt(3)
	v_mul_f32_e32 v31, v51, v37
	v_mul_f32_e32 v2, v51, v36
	v_fmac_f32_e32 v31, v50, v36
	v_fma_f32 v36, v50, v37, -v2
	s_waitcnt lgkmcnt(2)
	v_mul_f32_e32 v2, v61, v112
	v_mul_f32_e32 v41, v53, v27
	v_fma_f32 v50, v60, v113, -v2
	v_mul_f32_e32 v2, v63, v34
	v_fmac_f32_e32 v41, v52, v26
	v_fma_f32 v52, v62, v35, -v2
	s_waitcnt lgkmcnt(1)
	v_mul_f32_e32 v2, v57, v116
	v_add_f32_e32 v3, v131, v133
	v_fmac_f32_e32 v43, v54, v32
	v_mul_f32_e32 v53, v57, v117
	v_fma_f32 v54, v56, v117, -v2
	v_mul_f32_e32 v2, v59, v38
	v_fma_f32 v12, -0.5, v3, v8
	v_fmac_f32_e32 v53, v56, v116
	v_mul_f32_e32 v55, v59, v39
	v_fma_f32 v56, v58, v39, -v2
	v_mul_f32_e32 v2, v69, v114
	v_mul_f32_e32 v59, v71, v17
	v_sub_f32_e32 v3, v123, v20
	v_mov_b32_e32 v14, v12
	v_mul_f32_e32 v49, v61, v113
	v_fmac_f32_e32 v55, v58, v38
	v_fma_f32 v58, v68, v115, -v2
	v_fmac_f32_e32 v59, v70, v16
	v_mul_f32_e32 v2, v71, v16
	v_fmac_f32_e32 v14, 0xbf737871, v3
	v_sub_f32_e32 v13, v132, v18
	v_sub_f32_e32 v15, v122, v131
	;; [unrolled: 1-line block ×3, first 2 shown]
	v_fmac_f32_e32 v12, 0x3f737871, v3
	v_fmac_f32_e32 v49, v60, v112
	v_mul_f32_e32 v51, v63, v35
	v_fma_f32 v60, v70, v17, -v2
	v_mul_f32_e32 v2, v65, v118
	v_fmac_f32_e32 v14, 0xbf167918, v13
	v_add_f32_e32 v15, v15, v16
	v_fmac_f32_e32 v12, 0x3f167918, v13
	v_fmac_f32_e32 v51, v62, v34
	v_mul_f32_e32 v61, v65, v119
	v_fma_f32 v62, v64, v119, -v2
	s_waitcnt lgkmcnt(0)
	v_mul_f32_e32 v2, v67, v120
	v_fmac_f32_e32 v14, 0x3e9e377a, v15
	v_fmac_f32_e32 v12, 0x3e9e377a, v15
	v_add_f32_e32 v15, v122, v19
	v_fmac_f32_e32 v61, v64, v118
	v_fma_f32 v64, v66, v121, -v2
	v_add_f32_e32 v2, v8, v122
	v_fma_f32 v8, -0.5, v15, v8
	v_mov_b32_e32 v16, v8
	v_add_f32_e32 v2, v2, v131
	v_fmac_f32_e32 v16, 0x3f737871, v13
	v_sub_f32_e32 v15, v131, v122
	v_sub_f32_e32 v17, v133, v19
	v_fmac_f32_e32 v8, 0xbf737871, v13
	v_add_f32_e32 v13, v132, v18
	v_add_f32_e32 v2, v2, v133
	v_fmac_f32_e32 v16, 0xbf167918, v3
	v_add_f32_e32 v15, v15, v17
	v_fmac_f32_e32 v8, 0x3f167918, v3
	v_fma_f32 v13, -0.5, v13, v9
	v_add_f32_e32 v2, v2, v19
	v_fmac_f32_e32 v16, 0x3e9e377a, v15
	v_fmac_f32_e32 v8, 0x3e9e377a, v15
	v_sub_f32_e32 v19, v122, v19
	v_mov_b32_e32 v15, v13
	v_fmac_f32_e32 v15, 0x3f737871, v19
	v_sub_f32_e32 v21, v131, v133
	v_sub_f32_e32 v17, v123, v132
	;; [unrolled: 1-line block ×3, first 2 shown]
	v_fmac_f32_e32 v13, 0xbf737871, v19
	v_fmac_f32_e32 v15, 0x3f167918, v21
	v_add_f32_e32 v17, v17, v22
	v_fmac_f32_e32 v13, 0xbf167918, v21
	v_fmac_f32_e32 v15, 0x3e9e377a, v17
	;; [unrolled: 1-line block ×3, first 2 shown]
	v_add_f32_e32 v17, v123, v20
	v_add_f32_e32 v3, v9, v123
	v_fma_f32 v9, -0.5, v17, v9
	v_mov_b32_e32 v17, v9
	v_add_f32_e32 v3, v3, v132
	v_fmac_f32_e32 v17, 0xbf737871, v21
	v_fmac_f32_e32 v9, 0x3f737871, v21
	v_add_f32_e32 v3, v3, v18
	v_fmac_f32_e32 v17, 0x3f167918, v19
	v_fmac_f32_e32 v9, 0xbf167918, v19
	v_add_f32_e32 v19, v25, v46
	v_add_f32_e32 v3, v3, v20
	v_sub_f32_e32 v22, v132, v123
	v_sub_f32_e32 v18, v18, v20
	v_fma_f32 v20, -0.5, v19, v10
	v_add_f32_e32 v18, v22, v18
	v_sub_f32_e32 v19, v44, v40
	v_mov_b32_e32 v22, v20
	v_fmac_f32_e32 v22, 0xbf737871, v19
	v_sub_f32_e32 v21, v45, v28
	v_sub_f32_e32 v23, v134, v25
	;; [unrolled: 1-line block ×3, first 2 shown]
	v_fmac_f32_e32 v20, 0x3f737871, v19
	v_fmac_f32_e32 v22, 0xbf167918, v21
	v_add_f32_e32 v23, v23, v24
	v_fmac_f32_e32 v20, 0x3f167918, v21
	v_fmac_f32_e32 v22, 0x3e9e377a, v23
	;; [unrolled: 1-line block ×3, first 2 shown]
	v_add_f32_e32 v23, v134, v29
	v_fmac_f32_e32 v17, 0x3e9e377a, v18
	v_fmac_f32_e32 v9, 0x3e9e377a, v18
	v_add_f32_e32 v18, v10, v134
	v_fma_f32 v10, -0.5, v23, v10
	v_mov_b32_e32 v24, v10
	v_fmac_f32_e32 v24, 0x3f737871, v21
	v_sub_f32_e32 v23, v25, v134
	v_sub_f32_e32 v26, v46, v29
	v_fmac_f32_e32 v10, 0xbf737871, v21
	v_add_f32_e32 v21, v45, v28
	v_add_f32_e32 v18, v18, v25
	v_fmac_f32_e32 v24, 0xbf167918, v19
	v_add_f32_e32 v23, v23, v26
	v_fmac_f32_e32 v10, 0x3f167918, v19
	v_fma_f32 v21, -0.5, v21, v11
	v_add_f32_e32 v18, v18, v46
	v_fmac_f32_e32 v24, 0x3e9e377a, v23
	v_fmac_f32_e32 v10, 0x3e9e377a, v23
	v_sub_f32_e32 v26, v134, v29
	v_mov_b32_e32 v23, v21
	v_add_f32_e32 v18, v18, v29
	v_fmac_f32_e32 v23, 0x3f737871, v26
	v_sub_f32_e32 v27, v25, v46
	v_sub_f32_e32 v25, v44, v45
	;; [unrolled: 1-line block ×3, first 2 shown]
	v_fmac_f32_e32 v21, 0xbf737871, v26
	v_fmac_f32_e32 v23, 0x3f167918, v27
	v_add_f32_e32 v25, v25, v29
	v_fmac_f32_e32 v21, 0xbf167918, v27
	v_fmac_f32_e32 v23, 0x3e9e377a, v25
	;; [unrolled: 1-line block ×3, first 2 shown]
	v_add_f32_e32 v25, v44, v40
	v_add_f32_e32 v19, v11, v44
	v_fmac_f32_e32 v11, -0.5, v25
	v_add_f32_e32 v19, v19, v45
	v_mov_b32_e32 v25, v11
	v_add_f32_e32 v19, v19, v28
	v_fmac_f32_e32 v25, 0xbf737871, v27
	v_sub_f32_e32 v29, v45, v44
	v_sub_f32_e32 v28, v28, v40
	v_fmac_f32_e32 v11, 0x3f737871, v27
	v_fmac_f32_e32 v25, 0x3f167918, v26
	v_add_f32_e32 v28, v29, v28
	v_fmac_f32_e32 v11, 0xbf167918, v26
	v_add_f32_e32 v27, v43, v33
	v_fmac_f32_e32 v25, 0x3e9e377a, v28
	v_fmac_f32_e32 v11, 0x3e9e377a, v28
	v_fma_f32 v28, -0.5, v27, v4
	v_sub_f32_e32 v27, v42, v36
	v_mov_b32_e32 v30, v28
	v_fmac_f32_e32 v30, 0xbf737871, v27
	v_sub_f32_e32 v29, v47, v48
	v_sub_f32_e32 v32, v41, v43
	;; [unrolled: 1-line block ×3, first 2 shown]
	v_fmac_f32_e32 v28, 0x3f737871, v27
	v_fmac_f32_e32 v30, 0xbf167918, v29
	v_add_f32_e32 v32, v32, v34
	v_fmac_f32_e32 v28, 0x3f167918, v29
	v_fmac_f32_e32 v30, 0x3e9e377a, v32
	;; [unrolled: 1-line block ×3, first 2 shown]
	v_add_f32_e32 v32, v41, v31
	v_add_f32_e32 v26, v4, v41
	v_fma_f32 v4, -0.5, v32, v4
	v_mov_b32_e32 v32, v4
	v_add_f32_e32 v26, v26, v43
	v_fmac_f32_e32 v32, 0x3f737871, v29
	v_sub_f32_e32 v34, v43, v41
	v_sub_f32_e32 v35, v33, v31
	v_fmac_f32_e32 v4, 0xbf737871, v29
	v_add_f32_e32 v29, v47, v48
	v_add_f32_e32 v26, v26, v33
	v_fmac_f32_e32 v32, 0xbf167918, v27
	v_add_f32_e32 v34, v34, v35
	v_fmac_f32_e32 v4, 0x3f167918, v27
	v_fma_f32 v29, -0.5, v29, v5
	v_add_f32_e32 v26, v26, v31
	v_fmac_f32_e32 v32, 0x3e9e377a, v34
	v_fmac_f32_e32 v4, 0x3e9e377a, v34
	v_sub_f32_e32 v34, v41, v31
	v_mov_b32_e32 v31, v29
	v_fmac_f32_e32 v31, 0x3f737871, v34
	v_sub_f32_e32 v35, v43, v33
	v_sub_f32_e32 v33, v42, v47
	;; [unrolled: 1-line block ×3, first 2 shown]
	v_fmac_f32_e32 v29, 0xbf737871, v34
	v_fmac_f32_e32 v31, 0x3f167918, v35
	v_add_f32_e32 v33, v33, v37
	v_fmac_f32_e32 v29, 0xbf167918, v35
	v_add_f32_e32 v27, v5, v42
	v_fmac_f32_e32 v31, 0x3e9e377a, v33
	v_fmac_f32_e32 v29, 0x3e9e377a, v33
	v_add_f32_e32 v33, v42, v36
	v_add_f32_e32 v27, v27, v47
	v_fma_f32 v5, -0.5, v33, v5
	v_add_f32_e32 v27, v27, v48
	v_mov_b32_e32 v33, v5
	v_add_f32_e32 v27, v27, v36
	v_fmac_f32_e32 v33, 0xbf737871, v35
	v_sub_f32_e32 v37, v47, v42
	v_sub_f32_e32 v36, v48, v36
	v_fmac_f32_e32 v5, 0x3f737871, v35
	v_fmac_f32_e32 v33, 0x3f167918, v34
	v_add_f32_e32 v36, v37, v36
	v_fmac_f32_e32 v5, 0xbf167918, v34
	v_add_f32_e32 v35, v51, v53
	v_fmac_f32_e32 v33, 0x3e9e377a, v36
	v_fmac_f32_e32 v5, 0x3e9e377a, v36
	v_fma_f32 v36, -0.5, v35, v6
	v_sub_f32_e32 v35, v50, v56
	v_mov_b32_e32 v38, v36
	v_add_f32_e32 v19, v19, v40
	v_fmac_f32_e32 v38, 0xbf737871, v35
	v_sub_f32_e32 v37, v52, v54
	v_sub_f32_e32 v39, v49, v51
	;; [unrolled: 1-line block ×3, first 2 shown]
	v_fmac_f32_e32 v36, 0x3f737871, v35
	v_fmac_f32_e32 v38, 0xbf167918, v37
	v_add_f32_e32 v39, v39, v40
	v_fmac_f32_e32 v36, 0x3f167918, v37
	v_fmac_f32_e32 v38, 0x3e9e377a, v39
	;; [unrolled: 1-line block ×3, first 2 shown]
	v_add_f32_e32 v39, v49, v55
	v_add_f32_e32 v34, v6, v49
	v_fma_f32 v6, -0.5, v39, v6
	v_mov_b32_e32 v40, v6
	v_fmac_f32_e32 v40, 0x3f737871, v37
	v_sub_f32_e32 v39, v51, v49
	v_sub_f32_e32 v41, v53, v55
	v_fmac_f32_e32 v6, 0xbf737871, v37
	v_add_f32_e32 v37, v52, v54
	v_fmac_f32_e32 v40, 0xbf167918, v35
	v_add_f32_e32 v39, v39, v41
	v_fmac_f32_e32 v6, 0x3f167918, v35
	v_fma_f32 v37, -0.5, v37, v7
	v_fmac_f32_e32 v40, 0x3e9e377a, v39
	v_fmac_f32_e32 v6, 0x3e9e377a, v39
	v_sub_f32_e32 v42, v49, v55
	v_mov_b32_e32 v39, v37
	v_fmac_f32_e32 v39, 0x3f737871, v42
	v_sub_f32_e32 v43, v51, v53
	v_sub_f32_e32 v41, v50, v52
	;; [unrolled: 1-line block ×3, first 2 shown]
	v_fmac_f32_e32 v37, 0xbf737871, v42
	v_fmac_f32_e32 v39, 0x3f167918, v43
	v_add_f32_e32 v41, v41, v44
	v_fmac_f32_e32 v37, 0xbf167918, v43
	v_fmac_f32_e32 v39, 0x3e9e377a, v41
	;; [unrolled: 1-line block ×3, first 2 shown]
	v_add_f32_e32 v41, v50, v56
	v_add_f32_e32 v35, v7, v50
	v_fmac_f32_e32 v7, -0.5, v41
	v_add_f32_e32 v34, v34, v51
	v_add_f32_e32 v35, v35, v52
	v_mov_b32_e32 v41, v7
	s_barrier
	ds_write2_b64 v193, v[2:3], v[14:15] offset1:65
	ds_write2_b64 v193, v[16:17], v[8:9] offset0:130 offset1:195
	ds_write2_b64 v127, v[12:13], v[18:19] offset0:4 offset1:69
	;; [unrolled: 1-line block ×4, first 2 shown]
	v_add_u32_e32 v2, 0x1000, v254
	v_add_f32_e32 v34, v34, v53
	v_add_f32_e32 v35, v35, v54
	v_fmac_f32_e32 v41, 0xbf737871, v43
	v_sub_f32_e32 v44, v52, v50
	v_sub_f32_e32 v45, v54, v56
	v_fmac_f32_e32 v7, 0x3f737871, v43
	ds_write2_b64 v2, v[26:27], v[30:31] offset0:138 offset1:203
	v_add_u32_e32 v2, 0x1800, v254
	v_add_f32_e32 v34, v34, v55
	v_add_f32_e32 v35, v35, v56
	v_fmac_f32_e32 v41, 0x3f167918, v42
	v_add_f32_e32 v44, v44, v45
	v_fmac_f32_e32 v7, 0xbf167918, v42
	ds_write2_b64 v2, v[32:33], v[4:5] offset0:12 offset1:77
	ds_write_b64 v254, v[28:29] offset:7280
	v_add_u32_e32 v2, 0x1c00, v255
	v_fmac_f32_e32 v41, 0x3e9e377a, v44
	v_fmac_f32_e32 v7, 0x3e9e377a, v44
	ds_write2_b64 v2, v[34:35], v[38:39] offset0:79 offset1:144
	v_add_u32_e32 v2, 0x2000, v255
	ds_write2_b64 v2, v[40:41], v[6:7] offset0:81 offset1:146
	ds_write_b64 v255, v[36:37] offset:9880
	buffer_load_dword v3, off, s[24:27], 0  ; 4-byte Folded Reload
	v_add_f32_e32 v43, v59, v61
	v_mul_f32_e32 v57, v69, v115
	v_mul_f32_e32 v63, v67, v121
	v_fma_f32 v44, -0.5, v43, v0
	v_fmac_f32_e32 v57, v68, v114
	v_fmac_f32_e32 v63, v66, v120
	v_sub_f32_e32 v43, v58, v64
	v_mov_b32_e32 v46, v44
	v_fmac_f32_e32 v46, 0xbf737871, v43
	v_sub_f32_e32 v45, v60, v62
	v_sub_f32_e32 v47, v57, v59
	;; [unrolled: 1-line block ×3, first 2 shown]
	v_fmac_f32_e32 v44, 0x3f737871, v43
	v_fmac_f32_e32 v46, 0xbf167918, v45
	v_add_f32_e32 v47, v47, v48
	v_fmac_f32_e32 v44, 0x3f167918, v45
	v_fmac_f32_e32 v46, 0x3e9e377a, v47
	;; [unrolled: 1-line block ×3, first 2 shown]
	v_add_f32_e32 v47, v57, v63
	v_add_f32_e32 v42, v0, v57
	v_fma_f32 v0, -0.5, v47, v0
	v_mov_b32_e32 v48, v0
	v_fmac_f32_e32 v48, 0x3f737871, v45
	v_sub_f32_e32 v47, v59, v57
	v_sub_f32_e32 v49, v61, v63
	v_fmac_f32_e32 v0, 0xbf737871, v45
	v_add_f32_e32 v45, v60, v62
	v_fmac_f32_e32 v48, 0xbf167918, v43
	v_add_f32_e32 v47, v47, v49
	v_fmac_f32_e32 v0, 0x3f167918, v43
	v_fma_f32 v45, -0.5, v45, v1
	v_fmac_f32_e32 v48, 0x3e9e377a, v47
	v_fmac_f32_e32 v0, 0x3e9e377a, v47
	v_sub_f32_e32 v50, v57, v63
	v_mov_b32_e32 v47, v45
	v_fmac_f32_e32 v47, 0x3f737871, v50
	v_sub_f32_e32 v51, v59, v61
	v_sub_f32_e32 v49, v58, v60
	;; [unrolled: 1-line block ×3, first 2 shown]
	v_fmac_f32_e32 v45, 0xbf737871, v50
	v_fmac_f32_e32 v47, 0x3f167918, v51
	v_add_f32_e32 v49, v49, v52
	v_fmac_f32_e32 v45, 0xbf167918, v51
	v_fmac_f32_e32 v47, 0x3e9e377a, v49
	;; [unrolled: 1-line block ×3, first 2 shown]
	v_add_f32_e32 v49, v58, v64
	v_add_f32_e32 v43, v1, v58
	v_fmac_f32_e32 v1, -0.5, v49
	v_mov_b32_e32 v49, v1
	v_add_f32_e32 v42, v42, v59
	v_add_f32_e32 v43, v43, v60
	v_fmac_f32_e32 v49, 0xbf737871, v51
	v_sub_f32_e32 v52, v60, v58
	v_sub_f32_e32 v53, v62, v64
	v_fmac_f32_e32 v1, 0x3f737871, v51
	v_add_f32_e32 v42, v42, v61
	v_add_f32_e32 v43, v43, v62
	v_fmac_f32_e32 v49, 0x3f167918, v50
	v_add_f32_e32 v52, v52, v53
	v_fmac_f32_e32 v1, 0xbf167918, v50
	v_add_f32_e32 v42, v42, v63
	v_add_f32_e32 v43, v43, v64
	v_fmac_f32_e32 v49, 0x3e9e377a, v52
	v_fmac_f32_e32 v1, 0x3e9e377a, v52
	v_mad_u64_u32 v[124:125], s[2:3], s10, v186, 0
	s_movk_i32 s10, 0x2000
	s_waitcnt vmcnt(0)
	v_add_u32_e32 v2, 0x2800, v3
	ds_write2_b64 v2, v[42:43], v[46:47] offset0:20 offset1:85
	ds_write2_b64 v2, v[48:49], v[0:1] offset0:150 offset1:215
	ds_write_b64 v3, v[44:45] offset:12480
	s_waitcnt lgkmcnt(0)
	s_barrier
	ds_read2_b64 v[8:11], v193 offset1:65
	ds_read2_b64 v[0:3], v127 offset0:4 offset1:69
	ds_read2_b64 v[12:15], v126 offset0:138 offset1:203
	ds_read2_b64 v[16:19], v128 offset0:142 offset1:207
	ds_read2_b64 v[20:23], v129 offset0:20 offset1:85
	ds_read2_b64 v[24:27], v127 offset0:134 offset1:199
	ds_read2_b64 v[28:31], v130 offset0:16 offset1:81
	ds_read2_b64 v[4:7], v193 offset0:130 offset1:195
	ds_read2_b64 v[32:35], v128 offset0:12 offset1:77
	ds_read2_b64 v[36:39], v129 offset0:150 offset1:215
	ds_read2_b64 v[40:43], v126 offset0:8 offset1:73
	ds_read2_b64 v[44:47], v130 offset0:146 offset1:211
	ds_read_b64 v[48:49], v193 offset:12480
	s_waitcnt lgkmcnt(11)
	v_mul_f32_e32 v50, v85, v3
	v_fmac_f32_e32 v50, v84, v2
	v_mul_f32_e32 v2, v85, v2
	v_fma_f32 v51, v84, v3, -v2
	s_waitcnt lgkmcnt(10)
	v_mul_f32_e32 v2, v87, v12
	v_fma_f32 v53, v86, v13, -v2
	s_waitcnt lgkmcnt(9)
	v_mul_f32_e32 v54, v73, v19
	v_mul_f32_e32 v2, v73, v18
	v_fmac_f32_e32 v54, v72, v18
	v_fma_f32 v18, v72, v19, -v2
	s_waitcnt lgkmcnt(8)
	v_mul_f32_e32 v19, v75, v21
	v_mul_f32_e32 v2, v75, v20
	v_fmac_f32_e32 v19, v74, v20
	v_fma_f32 v20, v74, v21, -v2
	s_waitcnt lgkmcnt(7)
	v_mul_f32_e32 v2, v93, v24
	v_fma_f32 v56, v92, v25, -v2
	v_mul_f32_e32 v2, v95, v14
	v_fma_f32 v57, v94, v15, -v2
	s_waitcnt lgkmcnt(6)
	v_mul_f32_e32 v58, v77, v29
	v_mul_f32_e32 v2, v77, v28
	v_fmac_f32_e32 v58, v76, v28
	v_fma_f32 v28, v76, v29, -v2
	v_mul_f32_e32 v2, v79, v22
	v_fma_f32 v59, v78, v23, -v2
	v_mul_f32_e32 v2, v101, v26
	v_fma_f32 v61, v100, v27, -v2
	s_waitcnt lgkmcnt(4)
	v_mul_f32_e32 v2, v103, v32
	v_fma_f32 v63, v102, v33, -v2
	v_mul_f32_e32 v2, v81, v30
	v_mul_f32_e32 v62, v103, v33
	;; [unrolled: 1-line block ×3, first 2 shown]
	v_fma_f32 v64, v80, v31, -v2
	s_waitcnt lgkmcnt(3)
	v_mul_f32_e32 v31, v83, v37
	v_mul_f32_e32 v2, v83, v36
	;; [unrolled: 1-line block ×3, first 2 shown]
	v_fmac_f32_e32 v31, v82, v36
	v_fma_f32 v36, v82, v37, -v2
	s_waitcnt lgkmcnt(2)
	v_mul_f32_e32 v2, v105, v40
	v_fmac_f32_e32 v52, v86, v12
	v_fma_f32 v66, v104, v41, -v2
	v_mul_f32_e32 v2, v107, v34
	v_fma_f32 v67, v106, v35, -v2
	s_waitcnt lgkmcnt(1)
	v_mul_f32_e32 v68, v89, v45
	v_mul_f32_e32 v2, v89, v44
	v_add_f32_e32 v3, v52, v54
	v_mul_f32_e32 v55, v93, v25
	v_mul_f32_e32 v25, v95, v15
	v_fmac_f32_e32 v68, v88, v44
	v_fma_f32 v44, v88, v45, -v2
	v_mul_f32_e32 v2, v91, v38
	v_fma_f32 v12, -0.5, v3, v8
	v_fmac_f32_e32 v25, v94, v14
	v_fma_f32 v69, v90, v39, -v2
	v_mul_f32_e32 v2, v109, v42
	v_mul_f32_e32 v72, v111, v17
	v_sub_f32_e32 v3, v51, v20
	v_mov_b32_e32 v14, v12
	v_fma_f32 v71, v108, v43, -v2
	v_fmac_f32_e32 v72, v110, v16
	v_mul_f32_e32 v2, v111, v16
	v_fmac_f32_e32 v14, 0xbf737871, v3
	v_sub_f32_e32 v13, v53, v18
	v_sub_f32_e32 v15, v50, v52
	v_sub_f32_e32 v16, v19, v54
	v_fmac_f32_e32 v12, 0x3f737871, v3
	v_fma_f32 v73, v110, v17, -v2
	v_mul_f32_e32 v2, v97, v46
	v_fmac_f32_e32 v14, 0xbf167918, v13
	v_add_f32_e32 v15, v15, v16
	v_fmac_f32_e32 v12, 0x3f167918, v13
	v_fma_f32 v75, v96, v47, -v2
	s_waitcnt lgkmcnt(0)
	v_mul_f32_e32 v2, v99, v48
	v_fmac_f32_e32 v14, 0x3e9e377a, v15
	v_fmac_f32_e32 v12, 0x3e9e377a, v15
	v_add_f32_e32 v15, v50, v19
	v_fma_f32 v76, v98, v49, -v2
	v_add_f32_e32 v2, v8, v50
	v_fma_f32 v8, -0.5, v15, v8
	v_mov_b32_e32 v16, v8
	v_add_f32_e32 v2, v2, v52
	v_fmac_f32_e32 v16, 0x3f737871, v13
	v_sub_f32_e32 v15, v52, v50
	v_sub_f32_e32 v17, v54, v19
	v_fmac_f32_e32 v8, 0xbf737871, v13
	v_add_f32_e32 v13, v53, v18
	v_add_f32_e32 v2, v2, v54
	v_fmac_f32_e32 v16, 0xbf167918, v3
	v_add_f32_e32 v15, v15, v17
	v_fmac_f32_e32 v8, 0x3f167918, v3
	v_fma_f32 v13, -0.5, v13, v9
	v_mul_f32_e32 v29, v79, v23
	v_add_f32_e32 v2, v2, v19
	v_fmac_f32_e32 v16, 0x3e9e377a, v15
	v_fmac_f32_e32 v8, 0x3e9e377a, v15
	v_sub_f32_e32 v19, v50, v19
	v_mov_b32_e32 v15, v13
	v_fmac_f32_e32 v29, v78, v22
	v_fmac_f32_e32 v15, 0x3f737871, v19
	v_sub_f32_e32 v21, v52, v54
	v_sub_f32_e32 v17, v51, v53
	;; [unrolled: 1-line block ×3, first 2 shown]
	v_fmac_f32_e32 v13, 0xbf737871, v19
	v_fmac_f32_e32 v15, 0x3f167918, v21
	v_add_f32_e32 v17, v17, v22
	v_fmac_f32_e32 v13, 0xbf167918, v21
	v_fmac_f32_e32 v15, 0x3e9e377a, v17
	;; [unrolled: 1-line block ×3, first 2 shown]
	v_add_f32_e32 v17, v51, v20
	v_add_f32_e32 v3, v9, v51
	v_fma_f32 v9, -0.5, v17, v9
	v_mov_b32_e32 v17, v9
	v_add_f32_e32 v3, v3, v53
	v_fmac_f32_e32 v17, 0xbf737871, v21
	v_fmac_f32_e32 v9, 0x3f737871, v21
	v_add_f32_e32 v3, v3, v18
	v_fmac_f32_e32 v17, 0x3f167918, v19
	v_fmac_f32_e32 v9, 0xbf167918, v19
	v_add_f32_e32 v19, v25, v58
	v_add_f32_e32 v3, v3, v20
	v_sub_f32_e32 v22, v53, v51
	v_sub_f32_e32 v18, v18, v20
	v_fma_f32 v20, -0.5, v19, v10
	v_fmac_f32_e32 v55, v92, v24
	v_add_f32_e32 v18, v22, v18
	v_sub_f32_e32 v19, v56, v59
	v_mov_b32_e32 v22, v20
	v_fmac_f32_e32 v22, 0xbf737871, v19
	v_sub_f32_e32 v21, v57, v28
	v_sub_f32_e32 v23, v55, v25
	;; [unrolled: 1-line block ×3, first 2 shown]
	v_fmac_f32_e32 v20, 0x3f737871, v19
	v_fmac_f32_e32 v22, 0xbf167918, v21
	v_add_f32_e32 v23, v23, v24
	v_fmac_f32_e32 v20, 0x3f167918, v21
	v_fmac_f32_e32 v22, 0x3e9e377a, v23
	;; [unrolled: 1-line block ×3, first 2 shown]
	v_add_f32_e32 v23, v55, v29
	v_fmac_f32_e32 v17, 0x3e9e377a, v18
	v_fmac_f32_e32 v9, 0x3e9e377a, v18
	v_add_f32_e32 v18, v10, v55
	v_fma_f32 v10, -0.5, v23, v10
	v_mul_f32_e32 v60, v101, v27
	v_mov_b32_e32 v24, v10
	v_fmac_f32_e32 v60, v100, v26
	v_fmac_f32_e32 v24, 0x3f737871, v21
	v_sub_f32_e32 v23, v25, v55
	v_sub_f32_e32 v26, v58, v29
	v_fmac_f32_e32 v10, 0xbf737871, v21
	v_add_f32_e32 v21, v57, v28
	v_add_f32_e32 v18, v18, v25
	v_fmac_f32_e32 v24, 0xbf167918, v19
	v_add_f32_e32 v23, v23, v26
	v_fmac_f32_e32 v10, 0x3f167918, v19
	v_fma_f32 v21, -0.5, v21, v11
	v_add_f32_e32 v18, v18, v58
	v_fmac_f32_e32 v24, 0x3e9e377a, v23
	v_fmac_f32_e32 v10, 0x3e9e377a, v23
	v_sub_f32_e32 v26, v55, v29
	v_mov_b32_e32 v23, v21
	v_add_f32_e32 v18, v18, v29
	v_fmac_f32_e32 v23, 0x3f737871, v26
	v_sub_f32_e32 v27, v25, v58
	v_sub_f32_e32 v25, v56, v57
	;; [unrolled: 1-line block ×3, first 2 shown]
	v_fmac_f32_e32 v21, 0xbf737871, v26
	v_fmac_f32_e32 v23, 0x3f167918, v27
	v_add_f32_e32 v25, v25, v29
	v_fmac_f32_e32 v21, 0xbf167918, v27
	v_fmac_f32_e32 v23, 0x3e9e377a, v25
	;; [unrolled: 1-line block ×3, first 2 shown]
	v_add_f32_e32 v25, v56, v59
	v_add_f32_e32 v19, v11, v56
	v_fmac_f32_e32 v11, -0.5, v25
	v_add_f32_e32 v19, v19, v57
	v_mov_b32_e32 v25, v11
	v_fmac_f32_e32 v62, v102, v32
	v_fmac_f32_e32 v33, v80, v30
	v_add_f32_e32 v19, v19, v28
	v_fmac_f32_e32 v25, 0xbf737871, v27
	v_sub_f32_e32 v29, v57, v56
	v_sub_f32_e32 v28, v28, v59
	v_fmac_f32_e32 v11, 0x3f737871, v27
	v_fmac_f32_e32 v25, 0x3f167918, v26
	v_add_f32_e32 v28, v29, v28
	v_fmac_f32_e32 v11, 0xbf167918, v26
	v_add_f32_e32 v27, v62, v33
	v_fmac_f32_e32 v25, 0x3e9e377a, v28
	v_fmac_f32_e32 v11, 0x3e9e377a, v28
	v_fma_f32 v28, -0.5, v27, v4
	v_mul_f32_e32 v65, v105, v41
	v_mul_f32_e32 v41, v107, v35
	v_sub_f32_e32 v27, v61, v36
	v_mov_b32_e32 v30, v28
	v_fmac_f32_e32 v41, v106, v34
	v_fmac_f32_e32 v30, 0xbf737871, v27
	v_sub_f32_e32 v29, v63, v64
	v_sub_f32_e32 v32, v60, v62
	;; [unrolled: 1-line block ×3, first 2 shown]
	v_fmac_f32_e32 v28, 0x3f737871, v27
	v_fmac_f32_e32 v30, 0xbf167918, v29
	v_add_f32_e32 v32, v32, v34
	v_fmac_f32_e32 v28, 0x3f167918, v29
	v_fmac_f32_e32 v30, 0x3e9e377a, v32
	;; [unrolled: 1-line block ×3, first 2 shown]
	v_add_f32_e32 v32, v60, v31
	v_add_f32_e32 v26, v4, v60
	v_fma_f32 v4, -0.5, v32, v4
	v_mov_b32_e32 v32, v4
	v_add_f32_e32 v26, v26, v62
	v_fmac_f32_e32 v32, 0x3f737871, v29
	v_sub_f32_e32 v34, v62, v60
	v_sub_f32_e32 v35, v33, v31
	v_fmac_f32_e32 v4, 0xbf737871, v29
	v_add_f32_e32 v29, v63, v64
	v_add_f32_e32 v26, v26, v33
	v_fmac_f32_e32 v32, 0xbf167918, v27
	v_add_f32_e32 v34, v34, v35
	v_fmac_f32_e32 v4, 0x3f167918, v27
	v_fma_f32 v29, -0.5, v29, v5
	v_add_f32_e32 v26, v26, v31
	v_fmac_f32_e32 v32, 0x3e9e377a, v34
	v_fmac_f32_e32 v4, 0x3e9e377a, v34
	v_sub_f32_e32 v34, v60, v31
	v_mov_b32_e32 v31, v29
	v_fmac_f32_e32 v31, 0x3f737871, v34
	v_sub_f32_e32 v35, v62, v33
	v_sub_f32_e32 v33, v61, v63
	;; [unrolled: 1-line block ×3, first 2 shown]
	v_fmac_f32_e32 v29, 0xbf737871, v34
	v_fmac_f32_e32 v31, 0x3f167918, v35
	v_add_f32_e32 v33, v33, v37
	v_fmac_f32_e32 v29, 0xbf167918, v35
	v_add_f32_e32 v27, v5, v61
	v_fmac_f32_e32 v31, 0x3e9e377a, v33
	v_fmac_f32_e32 v29, 0x3e9e377a, v33
	v_add_f32_e32 v33, v61, v36
	v_add_f32_e32 v27, v27, v63
	v_fma_f32 v5, -0.5, v33, v5
	v_add_f32_e32 v27, v27, v64
	v_mov_b32_e32 v33, v5
	v_add_f32_e32 v27, v27, v36
	v_fmac_f32_e32 v33, 0xbf737871, v35
	v_sub_f32_e32 v37, v63, v61
	v_sub_f32_e32 v36, v64, v36
	v_fmac_f32_e32 v5, 0x3f737871, v35
	v_fmac_f32_e32 v33, 0x3f167918, v34
	v_add_f32_e32 v36, v37, v36
	v_fmac_f32_e32 v5, 0xbf167918, v34
	v_add_f32_e32 v35, v41, v68
	v_mul_f32_e32 v45, v91, v39
	v_fmac_f32_e32 v33, 0x3e9e377a, v36
	v_fmac_f32_e32 v5, 0x3e9e377a, v36
	v_fma_f32 v36, -0.5, v35, v6
	v_fmac_f32_e32 v65, v104, v40
	v_fmac_f32_e32 v45, v90, v38
	v_sub_f32_e32 v35, v66, v69
	v_mov_b32_e32 v38, v36
	v_fmac_f32_e32 v38, 0xbf737871, v35
	v_sub_f32_e32 v37, v67, v44
	v_sub_f32_e32 v39, v65, v41
	;; [unrolled: 1-line block ×3, first 2 shown]
	v_fmac_f32_e32 v36, 0x3f737871, v35
	v_fmac_f32_e32 v38, 0xbf167918, v37
	v_add_f32_e32 v39, v39, v40
	v_fmac_f32_e32 v36, 0x3f167918, v37
	v_fmac_f32_e32 v38, 0x3e9e377a, v39
	;; [unrolled: 1-line block ×3, first 2 shown]
	v_add_f32_e32 v39, v65, v45
	v_add_f32_e32 v34, v6, v65
	v_fma_f32 v6, -0.5, v39, v6
	v_mul_f32_e32 v70, v109, v43
	v_mov_b32_e32 v40, v6
	v_fmac_f32_e32 v70, v108, v42
	v_fmac_f32_e32 v40, 0x3f737871, v37
	v_sub_f32_e32 v39, v41, v65
	v_sub_f32_e32 v42, v68, v45
	v_fmac_f32_e32 v6, 0xbf737871, v37
	v_add_f32_e32 v37, v67, v44
	v_add_f32_e32 v34, v34, v41
	v_fmac_f32_e32 v40, 0xbf167918, v35
	v_add_f32_e32 v39, v39, v42
	v_fmac_f32_e32 v6, 0x3f167918, v35
	v_fma_f32 v37, -0.5, v37, v7
	v_add_f32_e32 v34, v34, v68
	v_fmac_f32_e32 v40, 0x3e9e377a, v39
	v_fmac_f32_e32 v6, 0x3e9e377a, v39
	v_sub_f32_e32 v42, v65, v45
	v_mov_b32_e32 v39, v37
	v_add_f32_e32 v34, v34, v45
	v_fmac_f32_e32 v39, 0x3f737871, v42
	v_sub_f32_e32 v43, v41, v68
	v_sub_f32_e32 v41, v66, v67
	;; [unrolled: 1-line block ×3, first 2 shown]
	v_fmac_f32_e32 v37, 0xbf737871, v42
	v_fmac_f32_e32 v39, 0x3f167918, v43
	v_add_f32_e32 v41, v41, v45
	v_fmac_f32_e32 v37, 0xbf167918, v43
	v_fmac_f32_e32 v39, 0x3e9e377a, v41
	;; [unrolled: 1-line block ×3, first 2 shown]
	v_add_f32_e32 v41, v66, v69
	v_add_f32_e32 v35, v7, v66
	v_fmac_f32_e32 v7, -0.5, v41
	v_mul_f32_e32 v74, v97, v47
	v_add_f32_e32 v35, v35, v67
	v_mov_b32_e32 v41, v7
	v_fmac_f32_e32 v74, v96, v46
	v_add_f32_e32 v35, v35, v44
	v_fmac_f32_e32 v41, 0xbf737871, v43
	v_sub_f32_e32 v45, v67, v66
	v_sub_f32_e32 v44, v44, v69
	v_fmac_f32_e32 v7, 0x3f737871, v43
	v_fmac_f32_e32 v41, 0x3f167918, v42
	v_add_f32_e32 v44, v45, v44
	v_fmac_f32_e32 v7, 0xbf167918, v42
	v_add_f32_e32 v43, v72, v74
	v_mul_f32_e32 v47, v99, v49
	v_fmac_f32_e32 v41, 0x3e9e377a, v44
	v_fmac_f32_e32 v7, 0x3e9e377a, v44
	v_fma_f32 v44, -0.5, v43, v0
	v_fmac_f32_e32 v47, v98, v48
	v_sub_f32_e32 v43, v71, v76
	v_mov_b32_e32 v46, v44
	v_fmac_f32_e32 v46, 0xbf737871, v43
	v_sub_f32_e32 v45, v73, v75
	v_sub_f32_e32 v48, v70, v72
	;; [unrolled: 1-line block ×3, first 2 shown]
	v_fmac_f32_e32 v44, 0x3f737871, v43
	v_fmac_f32_e32 v46, 0xbf167918, v45
	v_add_f32_e32 v48, v48, v49
	v_fmac_f32_e32 v44, 0x3f167918, v45
	v_fmac_f32_e32 v46, 0x3e9e377a, v48
	;; [unrolled: 1-line block ×3, first 2 shown]
	v_add_f32_e32 v48, v70, v47
	v_add_f32_e32 v42, v0, v70
	v_fma_f32 v0, -0.5, v48, v0
	v_mov_b32_e32 v48, v0
	v_add_f32_e32 v42, v42, v72
	v_fmac_f32_e32 v48, 0x3f737871, v45
	v_fmac_f32_e32 v0, 0xbf737871, v45
	v_add_f32_e32 v45, v73, v75
	v_add_f32_e32 v42, v42, v74
	v_sub_f32_e32 v49, v72, v70
	v_sub_f32_e32 v50, v74, v47
	v_fma_f32 v45, -0.5, v45, v1
	v_add_f32_e32 v42, v42, v47
	v_fmac_f32_e32 v48, 0xbf167918, v43
	v_add_f32_e32 v49, v49, v50
	v_fmac_f32_e32 v0, 0x3f167918, v43
	v_sub_f32_e32 v50, v70, v47
	v_mov_b32_e32 v47, v45
	v_fmac_f32_e32 v48, 0x3e9e377a, v49
	v_fmac_f32_e32 v0, 0x3e9e377a, v49
	v_fmac_f32_e32 v47, 0x3f737871, v50
	v_sub_f32_e32 v51, v72, v74
	v_sub_f32_e32 v49, v71, v73
	;; [unrolled: 1-line block ×3, first 2 shown]
	v_fmac_f32_e32 v45, 0xbf737871, v50
	v_fmac_f32_e32 v47, 0x3f167918, v51
	v_add_f32_e32 v49, v49, v52
	v_fmac_f32_e32 v45, 0xbf167918, v51
	v_fmac_f32_e32 v47, 0x3e9e377a, v49
	;; [unrolled: 1-line block ×3, first 2 shown]
	v_add_f32_e32 v49, v71, v76
	v_add_f32_e32 v43, v1, v71
	v_fmac_f32_e32 v1, -0.5, v49
	ds_write_b64 v193, v[2:3]
	v_add_u32_e32 v2, 0x800, v247
	v_mov_b32_e32 v49, v1
	v_sub_f32_e32 v52, v73, v71
	v_sub_f32_e32 v53, v75, v76
	v_fmac_f32_e32 v1, 0x3f737871, v51
	ds_write2_b64 v2, v[14:15], v[22:23] offset0:69 offset1:134
	v_add_u32_e32 v2, 0x1000, v247
	v_add_f32_e32 v43, v43, v73
	v_fmac_f32_e32 v49, 0xbf737871, v51
	v_add_f32_e32 v52, v52, v53
	v_fmac_f32_e32 v1, 0xbf167918, v50
	ds_write2_b64 v2, v[16:17], v[24:25] offset0:138 offset1:203
	v_add_u32_e32 v2, 0x1c00, v247
	v_add_f32_e32 v43, v43, v75
	v_fmac_f32_e32 v49, 0x3f167918, v50
	v_fmac_f32_e32 v1, 0x3e9e377a, v52
	ds_write2_b64 v2, v[8:9], v[10:11] offset0:79 offset1:144
	v_add_u32_e32 v2, 0x2800, v247
	v_add_f32_e32 v19, v19, v59
	v_add_f32_e32 v35, v35, v69
	;; [unrolled: 1-line block ×3, first 2 shown]
	v_fmac_f32_e32 v49, 0x3e9e377a, v52
	ds_write2_b64 v2, v[12:13], v[20:21] offset0:20 offset1:85
	ds_write2_b64 v247, v[18:19], v[26:27] offset0:65 offset1:130
	ds_write_b64 v208, v[30:31] offset:2600
	ds_write_b64 v208, v[32:33] offset:5200
	;; [unrolled: 1-line block ×14, first 2 shown]
	s_waitcnt lgkmcnt(0)
	s_barrier
	ds_read2_b64 v[0:3], v193 offset1:125
	v_mov_b32_e32 v4, v125
	v_mad_u64_u32 v[4:5], s[2:3], s11, v186, v[4:5]
	s_mov_b32 s2, 0x6615bd85
	s_waitcnt lgkmcnt(0)
	v_mul_f32_e32 v5, v204, v1
	v_fmac_f32_e32 v5, v203, v0
	v_cvt_f64_f32_e32 v[5:6], v5
	v_mul_f32_e32 v0, v204, v0
	s_mov_b32 s3, 0x3f442a38
	v_fma_f32 v0, v203, v1, -v0
	v_cvt_f64_f32_e32 v[0:1], v0
	v_mul_f64 v[5:6], v[5:6], s[2:3]
	v_mad_u64_u32 v[7:8], s[4:5], s8, v183, 0
	v_mul_f64 v[0:1], v[0:1], s[2:3]
	v_mov_b32_e32 v125, v4
	v_mov_b32_e32 v4, v8
	s_movk_i32 s11, 0x1000
	v_mad_u64_u32 v[8:9], s[4:5], s9, v183, v[4:5]
	v_mul_f32_e32 v9, v202, v3
	v_fmac_f32_e32 v9, v201, v2
	v_cvt_f64_f32_e32 v[9:10], v9
	v_cvt_f32_f64_e32 v4, v[5:6]
	v_cvt_f32_f64_e32 v5, v[0:1]
	v_lshlrev_b64 v[0:1], 3, v[124:125]
	v_mov_b32_e32 v6, s7
	v_add_co_u32_e32 v11, vcc, s6, v0
	v_addc_co_u32_e32 v12, vcc, v6, v1, vcc
	v_mul_f64 v[0:1], v[9:10], s[2:3]
	v_mul_f32_e32 v2, v202, v2
	v_fma_f32 v2, v201, v3, -v2
	v_cvt_f64_f32_e32 v[2:3], v2
	v_lshlrev_b64 v[6:7], 3, v[7:8]
	s_mul_i32 s4, s9, 0x7d
	v_add_co_u32_e32 v10, vcc, v11, v6
	v_addc_co_u32_e32 v11, vcc, v12, v7, vcc
	v_add_u32_e32 v6, 0x400, v193
	v_mul_f64 v[8:9], v[2:3], s[2:3]
	global_store_dwordx2 v[10:11], v[4:5], off
	v_cvt_f32_f64_e32 v4, v[0:1]
	ds_read2_b64 v[0:3], v6 offset0:122 offset1:247
	s_mul_hi_u32 s5, s8, 0x7d
	s_add_i32 s5, s5, s4
	s_mul_i32 s4, s8, 0x7d
	s_lshl_b64 s[4:5], s[4:5], 3
	s_waitcnt lgkmcnt(0)
	v_mul_f32_e32 v7, v200, v1
	v_fmac_f32_e32 v7, v199, v0
	v_mul_f32_e32 v0, v200, v0
	v_fma_f32 v0, v199, v1, -v0
	v_cvt_f32_f64_e32 v5, v[8:9]
	v_cvt_f64_f32_e32 v[7:8], v7
	v_cvt_f64_f32_e32 v[0:1], v0
	v_mov_b32_e32 v19, s5
	v_add_co_u32_e32 v9, vcc, s4, v10
	v_mul_f64 v[7:8], v[7:8], s[2:3]
	v_mul_f64 v[0:1], v[0:1], s[2:3]
	v_addc_co_u32_e32 v10, vcc, v11, v19, vcc
	global_store_dwordx2 v[9:10], v[4:5], off
	v_add_u32_e32 v5, 0xc00, v193
	v_add_co_u32_e32 v9, vcc, s4, v9
	v_cvt_f32_f64_e32 v7, v[7:8]
	v_cvt_f32_f64_e32 v8, v[0:1]
	v_mul_f32_e32 v0, v185, v3
	v_fmac_f32_e32 v0, v184, v2
	v_cvt_f64_f32_e32 v[11:12], v0
	v_mul_f32_e32 v0, v185, v2
	v_fma_f32 v0, v184, v3, -v0
	v_cvt_f64_f32_e32 v[13:14], v0
	ds_read2_b64 v[0:3], v5 offset0:116 offset1:241
	v_mul_f64 v[11:12], v[11:12], s[2:3]
	v_addc_co_u32_e32 v10, vcc, v10, v19, vcc
	v_mul_f64 v[13:14], v[13:14], s[2:3]
	s_waitcnt lgkmcnt(0)
	v_mul_f32_e32 v4, v182, v1
	v_fmac_f32_e32 v4, v181, v0
	v_mul_f32_e32 v0, v182, v0
	v_fma_f32 v0, v181, v1, -v0
	v_cvt_f64_f32_e32 v[15:16], v4
	v_cvt_f64_f32_e32 v[0:1], v0
	global_store_dwordx2 v[9:10], v[7:8], off
	v_cvt_f32_f64_e32 v7, v[11:12]
	v_mul_f64 v[11:12], v[15:16], s[2:3]
	v_mul_f64 v[0:1], v[0:1], s[2:3]
	v_cvt_f32_f64_e32 v8, v[13:14]
	v_add_co_u32_e32 v13, vcc, s4, v9
	v_addc_co_u32_e32 v14, vcc, v10, v19, vcc
	global_store_dwordx2 v[13:14], v[7:8], off
	v_cvt_f32_f64_e32 v11, v[11:12]
	v_cvt_f32_f64_e32 v12, v[0:1]
	v_mul_f32_e32 v0, v180, v3
	v_fmac_f32_e32 v0, v179, v2
	v_mul_f32_e32 v2, v180, v2
	v_fma_f32 v2, v179, v3, -v2
	v_add_u32_e32 v3, 0x1400, v193
	ds_read2_b64 v[7:10], v3 offset0:110 offset1:235
	v_cvt_f64_f32_e32 v[0:1], v0
	v_cvt_f64_f32_e32 v[15:16], v2
	v_add_co_u32_e32 v13, vcc, s4, v13
	s_waitcnt lgkmcnt(0)
	v_mul_f32_e32 v2, v188, v8
	v_fmac_f32_e32 v2, v187, v7
	v_cvt_f64_f32_e32 v[17:18], v2
	v_mul_f32_e32 v2, v188, v7
	v_mul_f64 v[0:1], v[0:1], s[2:3]
	v_mul_f64 v[15:16], v[15:16], s[2:3]
	v_fma_f32 v2, v187, v8, -v2
	v_cvt_f64_f32_e32 v[7:8], v2
	v_addc_co_u32_e32 v14, vcc, v14, v19, vcc
	global_store_dwordx2 v[13:14], v[11:12], off
	v_mul_f64 v[11:12], v[17:18], s[2:3]
	v_mul_f64 v[7:8], v[7:8], s[2:3]
	v_cvt_f32_f64_e32 v0, v[0:1]
	v_cvt_f32_f64_e32 v1, v[15:16]
	v_add_co_u32_e32 v13, vcc, s4, v13
	v_mul_f32_e32 v2, v178, v10
	v_addc_co_u32_e32 v14, vcc, v14, v19, vcc
	v_fmac_f32_e32 v2, v177, v9
	global_store_dwordx2 v[13:14], v[0:1], off
	v_cvt_f32_f64_e32 v0, v[11:12]
	v_cvt_f64_f32_e32 v[11:12], v2
	v_mul_f32_e32 v2, v178, v9
	v_add_u32_e32 v4, 0x1c00, v193
	v_cvt_f32_f64_e32 v1, v[7:8]
	v_fma_f32 v2, v177, v10, -v2
	ds_read2_b64 v[7:10], v4 offset0:104 offset1:229
	v_cvt_f64_f32_e32 v[15:16], v2
	v_mul_f64 v[11:12], v[11:12], s[2:3]
	v_add_co_u32_e32 v13, vcc, s4, v13
	s_waitcnt lgkmcnt(0)
	v_mul_f32_e32 v2, v176, v8
	v_fmac_f32_e32 v2, v175, v7
	v_mul_f64 v[15:16], v[15:16], s[2:3]
	v_cvt_f64_f32_e32 v[17:18], v2
	v_mul_f32_e32 v2, v176, v7
	v_fma_f32 v2, v175, v8, -v2
	v_addc_co_u32_e32 v14, vcc, v14, v19, vcc
	v_cvt_f64_f32_e32 v[7:8], v2
	global_store_dwordx2 v[13:14], v[0:1], off
	v_cvt_f32_f64_e32 v0, v[11:12]
	v_mul_f64 v[11:12], v[17:18], s[2:3]
	v_mul_f64 v[7:8], v[7:8], s[2:3]
	v_cvt_f32_f64_e32 v1, v[15:16]
	v_add_co_u32_e32 v13, vcc, s4, v13
	v_mul_f32_e32 v2, v174, v10
	v_addc_co_u32_e32 v14, vcc, v14, v19, vcc
	v_fmac_f32_e32 v2, v173, v9
	global_store_dwordx2 v[13:14], v[0:1], off
	v_cvt_f32_f64_e32 v0, v[11:12]
	v_cvt_f64_f32_e32 v[11:12], v2
	v_mul_f32_e32 v2, v174, v9
	v_fma_f32 v2, v173, v10, -v2
	v_cvt_f64_f32_e32 v[15:16], v2
	v_add_u32_e32 v2, 0x2400, v193
	v_cvt_f32_f64_e32 v1, v[7:8]
	ds_read2_b64 v[7:10], v2 offset0:98 offset1:223
	v_mul_f64 v[11:12], v[11:12], s[2:3]
	v_mul_f64 v[15:16], v[15:16], s[2:3]
	v_add_co_u32_e32 v13, vcc, s4, v13
	s_waitcnt lgkmcnt(0)
	v_mul_f32_e32 v17, v172, v8
	v_fmac_f32_e32 v17, v171, v7
	v_mul_f32_e32 v7, v172, v7
	v_fma_f32 v7, v171, v8, -v7
	v_cvt_f64_f32_e32 v[7:8], v7
	v_cvt_f64_f32_e32 v[17:18], v17
	v_addc_co_u32_e32 v14, vcc, v14, v19, vcc
	v_mul_f64 v[7:8], v[7:8], s[2:3]
	global_store_dwordx2 v[13:14], v[0:1], off
	v_cvt_f32_f64_e32 v0, v[11:12]
	v_mul_f64 v[11:12], v[17:18], s[2:3]
	v_cvt_f32_f64_e32 v1, v[15:16]
	v_add_co_u32_e32 v13, vcc, s4, v13
	v_addc_co_u32_e32 v14, vcc, v14, v19, vcc
	global_store_dwordx2 v[13:14], v[0:1], off
	v_cvt_f32_f64_e32 v1, v[7:8]
	v_mul_f32_e32 v7, v170, v10
	v_fmac_f32_e32 v7, v169, v9
	v_cvt_f32_f64_e32 v0, v[11:12]
	v_cvt_f64_f32_e32 v[7:8], v7
	ds_read_b64 v[11:12], v193 offset:12000
	v_mul_f32_e32 v9, v170, v9
	v_fma_f32 v9, v169, v10, -v9
	v_mul_f64 v[7:8], v[7:8], s[2:3]
	v_cvt_f64_f32_e32 v[9:10], v9
	s_waitcnt lgkmcnt(0)
	v_mul_f32_e32 v15, v168, v12
	v_fmac_f32_e32 v15, v167, v11
	v_mul_f32_e32 v11, v168, v11
	v_fma_f32 v11, v167, v12, -v11
	v_cvt_f64_f32_e32 v[15:16], v15
	v_cvt_f64_f32_e32 v[11:12], v11
	v_add_co_u32_e32 v13, vcc, s4, v13
	v_mul_f64 v[9:10], v[9:10], s[2:3]
	v_addc_co_u32_e32 v14, vcc, v14, v19, vcc
	global_store_dwordx2 v[13:14], v[0:1], off
	v_cvt_f32_f64_e32 v0, v[7:8]
	v_mul_f64 v[7:8], v[15:16], s[2:3]
	v_mul_f64 v[11:12], v[11:12], s[2:3]
	v_cvt_f32_f64_e32 v1, v[9:10]
	v_add_co_u32_e32 v9, vcc, s4, v13
	v_addc_co_u32_e32 v10, vcc, v14, v19, vcc
	v_cvt_f32_f64_e32 v7, v[7:8]
	v_cvt_f32_f64_e32 v8, v[11:12]
	global_store_dwordx2 v[9:10], v[0:1], off
	v_add_co_u32_e32 v0, vcc, s4, v9
	v_addc_co_u32_e32 v1, vcc, v10, v19, vcc
	global_store_dwordx2 v[0:1], v[7:8], off
	s_and_b64 exec, exec, s[0:1]
	s_cbranch_execz .LBB0_15
; %bb.14:
	global_load_dwordx2 v[7:8], v[160:161], off offset:520
	ds_read_b64 v[9:10], v247 offset:520
	v_mov_b32_e32 v13, s5
	s_waitcnt vmcnt(0) lgkmcnt(0)
	v_mul_f32_e32 v11, v10, v8
	v_mul_f32_e32 v8, v9, v8
	v_fmac_f32_e32 v11, v9, v7
	v_fma_f32 v9, v7, v10, -v8
	v_cvt_f64_f32_e32 v[7:8], v11
	v_cvt_f64_f32_e32 v[9:10], v9
	v_mov_b32_e32 v11, 0xffffd328
	v_mad_u64_u32 v[0:1], s[0:1], s8, v11, v[0:1]
	v_mul_f64 v[7:8], v[7:8], s[2:3]
	v_mul_f64 v[9:10], v[9:10], s[2:3]
	s_mul_i32 s0, s9, 0xffffd328
	s_sub_i32 s0, s0, s8
	v_add_u32_e32 v1, s0, v1
	s_movk_i32 s0, 0x3000
	v_cvt_f32_f64_e32 v7, v[7:8]
	v_cvt_f32_f64_e32 v8, v[9:10]
	global_store_dwordx2 v[0:1], v[7:8], off
	global_load_dwordx2 v[10:11], v[160:161], off offset:1520
	ds_read2_b64 v[6:9], v6 offset0:62 offset1:187
	v_add_co_u32_e32 v0, vcc, s4, v0
	v_addc_co_u32_e32 v1, vcc, v1, v13, vcc
	s_waitcnt vmcnt(0) lgkmcnt(0)
	v_mul_f32_e32 v12, v7, v11
	v_mul_f32_e32 v11, v6, v11
	v_fmac_f32_e32 v12, v6, v10
	v_fma_f32 v10, v10, v7, -v11
	v_cvt_f64_f32_e32 v[6:7], v12
	v_cvt_f64_f32_e32 v[10:11], v10
	v_mul_f64 v[6:7], v[6:7], s[2:3]
	v_mul_f64 v[10:11], v[10:11], s[2:3]
	v_cvt_f32_f64_e32 v6, v[6:7]
	v_cvt_f32_f64_e32 v7, v[10:11]
	global_store_dwordx2 v[0:1], v[6:7], off
	global_load_dwordx2 v[6:7], v[160:161], off offset:2520
	v_add_co_u32_e32 v0, vcc, s4, v0
	v_addc_co_u32_e32 v1, vcc, v1, v13, vcc
	s_waitcnt vmcnt(0)
	v_mul_f32_e32 v10, v9, v7
	v_mul_f32_e32 v7, v8, v7
	v_fmac_f32_e32 v10, v8, v6
	v_fma_f32 v8, v6, v9, -v7
	v_cvt_f64_f32_e32 v[6:7], v10
	v_cvt_f64_f32_e32 v[8:9], v8
	v_mul_f64 v[6:7], v[6:7], s[2:3]
	v_mul_f64 v[8:9], v[8:9], s[2:3]
	v_cvt_f32_f64_e32 v6, v[6:7]
	v_cvt_f32_f64_e32 v7, v[8:9]
	global_store_dwordx2 v[0:1], v[6:7], off
	global_load_dwordx2 v[9:10], v[160:161], off offset:3520
	ds_read2_b64 v[5:8], v5 offset0:56 offset1:181
	s_waitcnt vmcnt(0) lgkmcnt(0)
	v_mul_f32_e32 v11, v6, v10
	v_mul_f32_e32 v10, v5, v10
	v_fmac_f32_e32 v11, v5, v9
	v_fma_f32 v9, v9, v6, -v10
	v_cvt_f64_f32_e32 v[5:6], v11
	v_cvt_f64_f32_e32 v[9:10], v9
	v_add_co_u32_e32 v11, vcc, s11, v160
	v_mul_f64 v[5:6], v[5:6], s[2:3]
	v_mul_f64 v[9:10], v[9:10], s[2:3]
	v_addc_co_u32_e32 v12, vcc, 0, v161, vcc
	v_add_co_u32_e32 v0, vcc, s4, v0
	v_addc_co_u32_e32 v1, vcc, v1, v13, vcc
	v_cvt_f32_f64_e32 v5, v[5:6]
	v_cvt_f32_f64_e32 v6, v[9:10]
	global_store_dwordx2 v[0:1], v[5:6], off
	global_load_dwordx2 v[5:6], v[11:12], off offset:424
	v_add_co_u32_e32 v0, vcc, s4, v0
	v_addc_co_u32_e32 v1, vcc, v1, v13, vcc
	s_waitcnt vmcnt(0)
	v_mul_f32_e32 v9, v8, v6
	v_mul_f32_e32 v6, v7, v6
	v_fmac_f32_e32 v9, v7, v5
	v_fma_f32 v7, v5, v8, -v6
	v_cvt_f64_f32_e32 v[5:6], v9
	v_cvt_f64_f32_e32 v[7:8], v7
	v_mul_f64 v[5:6], v[5:6], s[2:3]
	v_mul_f64 v[7:8], v[7:8], s[2:3]
	v_cvt_f32_f64_e32 v5, v[5:6]
	v_cvt_f32_f64_e32 v6, v[7:8]
	global_store_dwordx2 v[0:1], v[5:6], off
	global_load_dwordx2 v[9:10], v[11:12], off offset:1424
	ds_read2_b64 v[5:8], v3 offset0:50 offset1:175
	v_add_co_u32_e32 v0, vcc, s4, v0
	v_addc_co_u32_e32 v1, vcc, v1, v13, vcc
	s_waitcnt vmcnt(0) lgkmcnt(0)
	v_mul_f32_e32 v3, v6, v10
	v_mul_f32_e32 v10, v5, v10
	v_fmac_f32_e32 v3, v5, v9
	v_fma_f32 v9, v9, v6, -v10
	v_cvt_f64_f32_e32 v[5:6], v3
	v_cvt_f64_f32_e32 v[9:10], v9
	v_mul_f64 v[5:6], v[5:6], s[2:3]
	v_mul_f64 v[9:10], v[9:10], s[2:3]
	v_cvt_f32_f64_e32 v5, v[5:6]
	v_cvt_f32_f64_e32 v6, v[9:10]
	global_store_dwordx2 v[0:1], v[5:6], off
	global_load_dwordx2 v[5:6], v[11:12], off offset:2424
	v_add_co_u32_e32 v0, vcc, s4, v0
	v_addc_co_u32_e32 v1, vcc, v1, v13, vcc
	s_waitcnt vmcnt(0)
	v_mul_f32_e32 v3, v8, v6
	v_mul_f32_e32 v6, v7, v6
	v_fmac_f32_e32 v3, v7, v5
	v_fma_f32 v7, v5, v8, -v6
	v_cvt_f64_f32_e32 v[5:6], v3
	v_cvt_f64_f32_e32 v[7:8], v7
	v_mul_f64 v[5:6], v[5:6], s[2:3]
	v_mul_f64 v[7:8], v[7:8], s[2:3]
	v_cvt_f32_f64_e32 v5, v[5:6]
	v_cvt_f32_f64_e32 v6, v[7:8]
	global_store_dwordx2 v[0:1], v[5:6], off
	global_load_dwordx2 v[7:8], v[11:12], off offset:3424
	ds_read2_b64 v[3:6], v4 offset0:44 offset1:169
	s_waitcnt vmcnt(0) lgkmcnt(0)
	v_mul_f32_e32 v9, v4, v8
	v_mul_f32_e32 v8, v3, v8
	v_fmac_f32_e32 v9, v3, v7
	v_fma_f32 v7, v7, v4, -v8
	v_cvt_f64_f32_e32 v[3:4], v9
	v_cvt_f64_f32_e32 v[7:8], v7
	v_add_co_u32_e32 v9, vcc, s10, v160
	v_mul_f64 v[3:4], v[3:4], s[2:3]
	v_mul_f64 v[7:8], v[7:8], s[2:3]
	v_addc_co_u32_e32 v10, vcc, 0, v161, vcc
	v_add_co_u32_e32 v0, vcc, s4, v0
	v_addc_co_u32_e32 v1, vcc, v1, v13, vcc
	v_cvt_f32_f64_e32 v3, v[3:4]
	v_cvt_f32_f64_e32 v4, v[7:8]
	global_store_dwordx2 v[0:1], v[3:4], off
	global_load_dwordx2 v[3:4], v[9:10], off offset:328
	s_waitcnt vmcnt(0)
	v_mul_f32_e32 v7, v6, v4
	v_mul_f32_e32 v4, v5, v4
	v_fmac_f32_e32 v7, v5, v3
	v_fma_f32 v5, v3, v6, -v4
	v_cvt_f64_f32_e32 v[3:4], v7
	v_cvt_f64_f32_e32 v[5:6], v5
	v_mul_f64 v[3:4], v[3:4], s[2:3]
	v_mul_f64 v[5:6], v[5:6], s[2:3]
	v_cvt_f32_f64_e32 v3, v[3:4]
	v_cvt_f32_f64_e32 v4, v[5:6]
	v_add_co_u32_e32 v5, vcc, s4, v0
	v_addc_co_u32_e32 v6, vcc, v1, v13, vcc
	global_store_dwordx2 v[5:6], v[3:4], off
	global_load_dwordx2 v[7:8], v[9:10], off offset:1328
	ds_read2_b64 v[0:3], v2 offset0:38 offset1:163
	s_waitcnt vmcnt(0) lgkmcnt(0)
	v_mul_f32_e32 v4, v1, v8
	v_mul_f32_e32 v8, v0, v8
	v_fmac_f32_e32 v4, v0, v7
	v_fma_f32 v7, v7, v1, -v8
	v_cvt_f64_f32_e32 v[0:1], v4
	v_cvt_f64_f32_e32 v[7:8], v7
	v_add_co_u32_e32 v4, vcc, s4, v5
	v_mul_f64 v[0:1], v[0:1], s[2:3]
	v_mul_f64 v[7:8], v[7:8], s[2:3]
	v_addc_co_u32_e32 v5, vcc, v6, v13, vcc
	v_cvt_f32_f64_e32 v0, v[0:1]
	v_cvt_f32_f64_e32 v1, v[7:8]
	global_store_dwordx2 v[4:5], v[0:1], off
	global_load_dwordx2 v[0:1], v[9:10], off offset:2328
	v_add_co_u32_e32 v4, vcc, s4, v4
	v_addc_co_u32_e32 v5, vcc, v5, v13, vcc
	s_waitcnt vmcnt(0)
	v_mul_f32_e32 v6, v3, v1
	v_mul_f32_e32 v1, v2, v1
	v_fmac_f32_e32 v6, v2, v0
	v_fma_f32 v2, v0, v3, -v1
	v_cvt_f64_f32_e32 v[0:1], v6
	v_cvt_f64_f32_e32 v[2:3], v2
	v_mul_f64 v[0:1], v[0:1], s[2:3]
	v_mul_f64 v[2:3], v[2:3], s[2:3]
	v_cvt_f32_f64_e32 v0, v[0:1]
	v_cvt_f32_f64_e32 v1, v[2:3]
	global_store_dwordx2 v[4:5], v[0:1], off
	global_load_dwordx2 v[6:7], v[9:10], off offset:3328
	v_add_u32_e32 v0, 0x2c00, v193
	ds_read2_b64 v[0:3], v0 offset0:32 offset1:157
	s_waitcnt vmcnt(0) lgkmcnt(0)
	v_mul_f32_e32 v8, v1, v7
	v_mul_f32_e32 v7, v0, v7
	v_fmac_f32_e32 v8, v0, v6
	v_fma_f32 v6, v6, v1, -v7
	v_cvt_f64_f32_e32 v[0:1], v8
	v_cvt_f64_f32_e32 v[6:7], v6
	v_add_co_u32_e32 v8, vcc, s0, v160
	v_mul_f64 v[0:1], v[0:1], s[2:3]
	v_mul_f64 v[6:7], v[6:7], s[2:3]
	v_addc_co_u32_e32 v9, vcc, 0, v161, vcc
	v_add_co_u32_e32 v4, vcc, s4, v4
	v_addc_co_u32_e32 v5, vcc, v5, v13, vcc
	v_cvt_f32_f64_e32 v0, v[0:1]
	v_cvt_f32_f64_e32 v1, v[6:7]
	global_store_dwordx2 v[4:5], v[0:1], off
	global_load_dwordx2 v[0:1], v[8:9], off offset:232
	s_waitcnt vmcnt(0)
	v_mul_f32_e32 v6, v3, v1
	v_mul_f32_e32 v1, v2, v1
	v_fmac_f32_e32 v6, v2, v0
	v_fma_f32 v2, v0, v3, -v1
	v_cvt_f64_f32_e32 v[0:1], v6
	v_cvt_f64_f32_e32 v[2:3], v2
	v_mul_f64 v[0:1], v[0:1], s[2:3]
	v_mul_f64 v[2:3], v[2:3], s[2:3]
	v_cvt_f32_f64_e32 v0, v[0:1]
	v_cvt_f32_f64_e32 v1, v[2:3]
	v_add_co_u32_e32 v2, vcc, s4, v4
	v_addc_co_u32_e32 v3, vcc, v5, v13, vcc
	global_store_dwordx2 v[2:3], v[0:1], off
.LBB0_15:
	s_endpgm
	.section	.rodata,"a",@progbits
	.p2align	6, 0x0
	.amdhsa_kernel bluestein_single_fwd_len1625_dim1_sp_op_CI_CI
		.amdhsa_group_segment_fixed_size 26000
		.amdhsa_private_segment_fixed_size 88
		.amdhsa_kernarg_size 104
		.amdhsa_user_sgpr_count 6
		.amdhsa_user_sgpr_private_segment_buffer 1
		.amdhsa_user_sgpr_dispatch_ptr 0
		.amdhsa_user_sgpr_queue_ptr 0
		.amdhsa_user_sgpr_kernarg_segment_ptr 1
		.amdhsa_user_sgpr_dispatch_id 0
		.amdhsa_user_sgpr_flat_scratch_init 0
		.amdhsa_user_sgpr_private_segment_size 0
		.amdhsa_uses_dynamic_stack 0
		.amdhsa_system_sgpr_private_segment_wavefront_offset 1
		.amdhsa_system_sgpr_workgroup_id_x 1
		.amdhsa_system_sgpr_workgroup_id_y 0
		.amdhsa_system_sgpr_workgroup_id_z 0
		.amdhsa_system_sgpr_workgroup_info 0
		.amdhsa_system_vgpr_workitem_id 0
		.amdhsa_next_free_vgpr 256
		.amdhsa_next_free_sgpr 28
		.amdhsa_reserve_vcc 1
		.amdhsa_reserve_flat_scratch 0
		.amdhsa_float_round_mode_32 0
		.amdhsa_float_round_mode_16_64 0
		.amdhsa_float_denorm_mode_32 3
		.amdhsa_float_denorm_mode_16_64 3
		.amdhsa_dx10_clamp 1
		.amdhsa_ieee_mode 1
		.amdhsa_fp16_overflow 0
		.amdhsa_exception_fp_ieee_invalid_op 0
		.amdhsa_exception_fp_denorm_src 0
		.amdhsa_exception_fp_ieee_div_zero 0
		.amdhsa_exception_fp_ieee_overflow 0
		.amdhsa_exception_fp_ieee_underflow 0
		.amdhsa_exception_fp_ieee_inexact 0
		.amdhsa_exception_int_div_zero 0
	.end_amdhsa_kernel
	.text
.Lfunc_end0:
	.size	bluestein_single_fwd_len1625_dim1_sp_op_CI_CI, .Lfunc_end0-bluestein_single_fwd_len1625_dim1_sp_op_CI_CI
                                        ; -- End function
	.section	.AMDGPU.csdata,"",@progbits
; Kernel info:
; codeLenInByte = 33152
; NumSgprs: 32
; NumVgprs: 256
; ScratchSize: 88
; MemoryBound: 0
; FloatMode: 240
; IeeeMode: 1
; LDSByteSize: 26000 bytes/workgroup (compile time only)
; SGPRBlocks: 3
; VGPRBlocks: 63
; NumSGPRsForWavesPerEU: 32
; NumVGPRsForWavesPerEU: 256
; Occupancy: 1
; WaveLimiterHint : 1
; COMPUTE_PGM_RSRC2:SCRATCH_EN: 1
; COMPUTE_PGM_RSRC2:USER_SGPR: 6
; COMPUTE_PGM_RSRC2:TRAP_HANDLER: 0
; COMPUTE_PGM_RSRC2:TGID_X_EN: 1
; COMPUTE_PGM_RSRC2:TGID_Y_EN: 0
; COMPUTE_PGM_RSRC2:TGID_Z_EN: 0
; COMPUTE_PGM_RSRC2:TIDIG_COMP_CNT: 0
	.type	__hip_cuid_f318c724e43a5a91,@object ; @__hip_cuid_f318c724e43a5a91
	.section	.bss,"aw",@nobits
	.globl	__hip_cuid_f318c724e43a5a91
__hip_cuid_f318c724e43a5a91:
	.byte	0                               ; 0x0
	.size	__hip_cuid_f318c724e43a5a91, 1

	.ident	"AMD clang version 19.0.0git (https://github.com/RadeonOpenCompute/llvm-project roc-6.4.0 25133 c7fe45cf4b819c5991fe208aaa96edf142730f1d)"
	.section	".note.GNU-stack","",@progbits
	.addrsig
	.addrsig_sym __hip_cuid_f318c724e43a5a91
	.amdgpu_metadata
---
amdhsa.kernels:
  - .args:
      - .actual_access:  read_only
        .address_space:  global
        .offset:         0
        .size:           8
        .value_kind:     global_buffer
      - .actual_access:  read_only
        .address_space:  global
        .offset:         8
        .size:           8
        .value_kind:     global_buffer
      - .actual_access:  read_only
        .address_space:  global
        .offset:         16
        .size:           8
        .value_kind:     global_buffer
      - .actual_access:  read_only
        .address_space:  global
        .offset:         24
        .size:           8
        .value_kind:     global_buffer
      - .actual_access:  read_only
        .address_space:  global
        .offset:         32
        .size:           8
        .value_kind:     global_buffer
      - .offset:         40
        .size:           8
        .value_kind:     by_value
      - .address_space:  global
        .offset:         48
        .size:           8
        .value_kind:     global_buffer
      - .address_space:  global
        .offset:         56
        .size:           8
        .value_kind:     global_buffer
      - .address_space:  global
        .offset:         64
        .size:           8
        .value_kind:     global_buffer
      - .address_space:  global
        .offset:         72
        .size:           8
        .value_kind:     global_buffer
      - .offset:         80
        .size:           4
        .value_kind:     by_value
      - .address_space:  global
        .offset:         88
        .size:           8
        .value_kind:     global_buffer
      - .address_space:  global
        .offset:         96
        .size:           8
        .value_kind:     global_buffer
    .group_segment_fixed_size: 26000
    .kernarg_segment_align: 8
    .kernarg_segment_size: 104
    .language:       OpenCL C
    .language_version:
      - 2
      - 0
    .max_flat_workgroup_size: 130
    .name:           bluestein_single_fwd_len1625_dim1_sp_op_CI_CI
    .private_segment_fixed_size: 88
    .sgpr_count:     32
    .sgpr_spill_count: 0
    .symbol:         bluestein_single_fwd_len1625_dim1_sp_op_CI_CI.kd
    .uniform_work_group_size: 1
    .uses_dynamic_stack: false
    .vgpr_count:     256
    .vgpr_spill_count: 21
    .wavefront_size: 64
amdhsa.target:   amdgcn-amd-amdhsa--gfx906
amdhsa.version:
  - 1
  - 2
...

	.end_amdgpu_metadata
